;; amdgpu-corpus repo=ROCm/rocFFT kind=compiled arch=gfx1201 opt=O3
	.text
	.amdgcn_target "amdgcn-amd-amdhsa--gfx1201"
	.amdhsa_code_object_version 6
	.protected	fft_rtc_fwd_len1352_factors_2_13_13_4_wgs_52_tpt_52_halfLds_half_op_CI_CI_unitstride_sbrr_R2C_dirReg ; -- Begin function fft_rtc_fwd_len1352_factors_2_13_13_4_wgs_52_tpt_52_halfLds_half_op_CI_CI_unitstride_sbrr_R2C_dirReg
	.globl	fft_rtc_fwd_len1352_factors_2_13_13_4_wgs_52_tpt_52_halfLds_half_op_CI_CI_unitstride_sbrr_R2C_dirReg
	.p2align	8
	.type	fft_rtc_fwd_len1352_factors_2_13_13_4_wgs_52_tpt_52_halfLds_half_op_CI_CI_unitstride_sbrr_R2C_dirReg,@function
fft_rtc_fwd_len1352_factors_2_13_13_4_wgs_52_tpt_52_halfLds_half_op_CI_CI_unitstride_sbrr_R2C_dirReg: ; @fft_rtc_fwd_len1352_factors_2_13_13_4_wgs_52_tpt_52_halfLds_half_op_CI_CI_unitstride_sbrr_R2C_dirReg
; %bb.0:
	s_clause 0x2
	s_load_b128 s[8:11], s[0:1], 0x0
	s_load_b128 s[4:7], s[0:1], 0x58
	;; [unrolled: 1-line block ×3, first 2 shown]
	v_mul_u32_u24_e32 v1, 0x4ed, v0
	v_mov_b32_e32 v3, 0
	s_delay_alu instid0(VALU_DEP_2) | instskip(NEXT) | instid1(VALU_DEP_1)
	v_lshrrev_b32_e32 v1, 16, v1
	v_add_nc_u32_e32 v5, ttmp9, v1
	v_mov_b32_e32 v1, 0
	v_mov_b32_e32 v2, 0
	;; [unrolled: 1-line block ×3, first 2 shown]
	s_wait_kmcnt 0x0
	v_cmp_lt_u64_e64 s2, s[10:11], 2
	s_delay_alu instid0(VALU_DEP_1)
	s_and_b32 vcc_lo, exec_lo, s2
	s_cbranch_vccnz .LBB0_8
; %bb.1:
	s_load_b64 s[2:3], s[0:1], 0x10
	v_mov_b32_e32 v1, 0
	v_mov_b32_e32 v2, 0
	s_add_nc_u64 s[16:17], s[14:15], 8
	s_add_nc_u64 s[18:19], s[12:13], 8
	s_mov_b64 s[20:21], 1
	s_delay_alu instid0(VALU_DEP_1)
	v_dual_mov_b32 v27, v2 :: v_dual_mov_b32 v26, v1
	s_wait_kmcnt 0x0
	s_add_nc_u64 s[22:23], s[2:3], 8
	s_mov_b32 s3, 0
.LBB0_2:                                ; =>This Inner Loop Header: Depth=1
	s_load_b64 s[24:25], s[22:23], 0x0
                                        ; implicit-def: $vgpr30_vgpr31
	s_mov_b32 s2, exec_lo
	s_wait_kmcnt 0x0
	v_or_b32_e32 v4, s25, v6
	s_delay_alu instid0(VALU_DEP_1)
	v_cmpx_ne_u64_e32 0, v[3:4]
	s_wait_alu 0xfffe
	s_xor_b32 s26, exec_lo, s2
	s_cbranch_execz .LBB0_4
; %bb.3:                                ;   in Loop: Header=BB0_2 Depth=1
	s_cvt_f32_u32 s2, s24
	s_cvt_f32_u32 s27, s25
	s_sub_nc_u64 s[30:31], 0, s[24:25]
	s_wait_alu 0xfffe
	s_delay_alu instid0(SALU_CYCLE_1) | instskip(SKIP_1) | instid1(SALU_CYCLE_2)
	s_fmamk_f32 s2, s27, 0x4f800000, s2
	s_wait_alu 0xfffe
	v_s_rcp_f32 s2, s2
	s_delay_alu instid0(TRANS32_DEP_1) | instskip(SKIP_1) | instid1(SALU_CYCLE_2)
	s_mul_f32 s2, s2, 0x5f7ffffc
	s_wait_alu 0xfffe
	s_mul_f32 s27, s2, 0x2f800000
	s_wait_alu 0xfffe
	s_delay_alu instid0(SALU_CYCLE_2) | instskip(SKIP_1) | instid1(SALU_CYCLE_2)
	s_trunc_f32 s27, s27
	s_wait_alu 0xfffe
	s_fmamk_f32 s2, s27, 0xcf800000, s2
	s_cvt_u32_f32 s29, s27
	s_wait_alu 0xfffe
	s_delay_alu instid0(SALU_CYCLE_1) | instskip(SKIP_1) | instid1(SALU_CYCLE_2)
	s_cvt_u32_f32 s28, s2
	s_wait_alu 0xfffe
	s_mul_u64 s[34:35], s[30:31], s[28:29]
	s_wait_alu 0xfffe
	s_mul_hi_u32 s37, s28, s35
	s_mul_i32 s36, s28, s35
	s_mul_hi_u32 s2, s28, s34
	s_mul_i32 s33, s29, s34
	s_wait_alu 0xfffe
	s_add_nc_u64 s[36:37], s[2:3], s[36:37]
	s_mul_hi_u32 s27, s29, s34
	s_mul_hi_u32 s38, s29, s35
	s_add_co_u32 s2, s36, s33
	s_wait_alu 0xfffe
	s_add_co_ci_u32 s2, s37, s27
	s_mul_i32 s34, s29, s35
	s_add_co_ci_u32 s35, s38, 0
	s_wait_alu 0xfffe
	s_add_nc_u64 s[34:35], s[2:3], s[34:35]
	s_wait_alu 0xfffe
	v_add_co_u32 v4, s2, s28, s34
	s_delay_alu instid0(VALU_DEP_1) | instskip(SKIP_1) | instid1(VALU_DEP_1)
	s_cmp_lg_u32 s2, 0
	s_add_co_ci_u32 s29, s29, s35
	v_readfirstlane_b32 s28, v4
	s_wait_alu 0xfffe
	s_delay_alu instid0(VALU_DEP_1)
	s_mul_u64 s[30:31], s[30:31], s[28:29]
	s_wait_alu 0xfffe
	s_mul_hi_u32 s35, s28, s31
	s_mul_i32 s34, s28, s31
	s_mul_hi_u32 s2, s28, s30
	s_mul_i32 s33, s29, s30
	s_wait_alu 0xfffe
	s_add_nc_u64 s[34:35], s[2:3], s[34:35]
	s_mul_hi_u32 s27, s29, s30
	s_mul_hi_u32 s28, s29, s31
	s_wait_alu 0xfffe
	s_add_co_u32 s2, s34, s33
	s_add_co_ci_u32 s2, s35, s27
	s_mul_i32 s30, s29, s31
	s_add_co_ci_u32 s31, s28, 0
	s_wait_alu 0xfffe
	s_add_nc_u64 s[30:31], s[2:3], s[30:31]
	s_wait_alu 0xfffe
	v_add_co_u32 v4, s2, v4, s30
	s_delay_alu instid0(VALU_DEP_1) | instskip(SKIP_1) | instid1(VALU_DEP_1)
	s_cmp_lg_u32 s2, 0
	s_add_co_ci_u32 s2, s29, s31
	v_mul_hi_u32 v13, v5, v4
	s_wait_alu 0xfffe
	v_mad_co_u64_u32 v[7:8], null, v5, s2, 0
	v_mad_co_u64_u32 v[9:10], null, v6, v4, 0
	;; [unrolled: 1-line block ×3, first 2 shown]
	s_delay_alu instid0(VALU_DEP_3) | instskip(SKIP_1) | instid1(VALU_DEP_4)
	v_add_co_u32 v4, vcc_lo, v13, v7
	s_wait_alu 0xfffd
	v_add_co_ci_u32_e32 v7, vcc_lo, 0, v8, vcc_lo
	s_delay_alu instid0(VALU_DEP_2) | instskip(SKIP_1) | instid1(VALU_DEP_2)
	v_add_co_u32 v4, vcc_lo, v4, v9
	s_wait_alu 0xfffd
	v_add_co_ci_u32_e32 v4, vcc_lo, v7, v10, vcc_lo
	s_wait_alu 0xfffd
	v_add_co_ci_u32_e32 v7, vcc_lo, 0, v12, vcc_lo
	s_delay_alu instid0(VALU_DEP_2) | instskip(SKIP_1) | instid1(VALU_DEP_2)
	v_add_co_u32 v4, vcc_lo, v4, v11
	s_wait_alu 0xfffd
	v_add_co_ci_u32_e32 v9, vcc_lo, 0, v7, vcc_lo
	s_delay_alu instid0(VALU_DEP_2) | instskip(SKIP_1) | instid1(VALU_DEP_3)
	v_mul_lo_u32 v10, s25, v4
	v_mad_co_u64_u32 v[7:8], null, s24, v4, 0
	v_mul_lo_u32 v11, s24, v9
	s_delay_alu instid0(VALU_DEP_2) | instskip(NEXT) | instid1(VALU_DEP_2)
	v_sub_co_u32 v7, vcc_lo, v5, v7
	v_add3_u32 v8, v8, v11, v10
	s_delay_alu instid0(VALU_DEP_1) | instskip(SKIP_1) | instid1(VALU_DEP_1)
	v_sub_nc_u32_e32 v10, v6, v8
	s_wait_alu 0xfffd
	v_subrev_co_ci_u32_e64 v10, s2, s25, v10, vcc_lo
	v_add_co_u32 v11, s2, v4, 2
	s_wait_alu 0xf1ff
	v_add_co_ci_u32_e64 v12, s2, 0, v9, s2
	v_sub_co_u32 v13, s2, v7, s24
	v_sub_co_ci_u32_e32 v8, vcc_lo, v6, v8, vcc_lo
	s_wait_alu 0xf1ff
	v_subrev_co_ci_u32_e64 v10, s2, 0, v10, s2
	s_delay_alu instid0(VALU_DEP_3) | instskip(NEXT) | instid1(VALU_DEP_3)
	v_cmp_le_u32_e32 vcc_lo, s24, v13
	v_cmp_eq_u32_e64 s2, s25, v8
	s_wait_alu 0xfffd
	v_cndmask_b32_e64 v13, 0, -1, vcc_lo
	v_cmp_le_u32_e32 vcc_lo, s25, v10
	s_wait_alu 0xfffd
	v_cndmask_b32_e64 v14, 0, -1, vcc_lo
	v_cmp_le_u32_e32 vcc_lo, s24, v7
	;; [unrolled: 3-line block ×3, first 2 shown]
	s_wait_alu 0xfffd
	v_cndmask_b32_e64 v15, 0, -1, vcc_lo
	v_cmp_eq_u32_e32 vcc_lo, s25, v10
	s_wait_alu 0xf1ff
	s_delay_alu instid0(VALU_DEP_2)
	v_cndmask_b32_e64 v7, v15, v7, s2
	s_wait_alu 0xfffd
	v_cndmask_b32_e32 v10, v14, v13, vcc_lo
	v_add_co_u32 v13, vcc_lo, v4, 1
	s_wait_alu 0xfffd
	v_add_co_ci_u32_e32 v14, vcc_lo, 0, v9, vcc_lo
	s_delay_alu instid0(VALU_DEP_3) | instskip(SKIP_1) | instid1(VALU_DEP_2)
	v_cmp_ne_u32_e32 vcc_lo, 0, v10
	s_wait_alu 0xfffd
	v_cndmask_b32_e32 v8, v14, v12, vcc_lo
	v_cndmask_b32_e32 v10, v13, v11, vcc_lo
	v_cmp_ne_u32_e32 vcc_lo, 0, v7
	s_wait_alu 0xfffd
	s_delay_alu instid0(VALU_DEP_2)
	v_dual_cndmask_b32 v31, v9, v8 :: v_dual_cndmask_b32 v30, v4, v10
.LBB0_4:                                ;   in Loop: Header=BB0_2 Depth=1
	s_wait_alu 0xfffe
	s_and_not1_saveexec_b32 s2, s26
	s_cbranch_execz .LBB0_6
; %bb.5:                                ;   in Loop: Header=BB0_2 Depth=1
	v_cvt_f32_u32_e32 v4, s24
	s_sub_co_i32 s26, 0, s24
	v_mov_b32_e32 v31, v3
	s_delay_alu instid0(VALU_DEP_2) | instskip(NEXT) | instid1(TRANS32_DEP_1)
	v_rcp_iflag_f32_e32 v4, v4
	v_mul_f32_e32 v4, 0x4f7ffffe, v4
	s_delay_alu instid0(VALU_DEP_1) | instskip(SKIP_1) | instid1(VALU_DEP_1)
	v_cvt_u32_f32_e32 v4, v4
	s_wait_alu 0xfffe
	v_mul_lo_u32 v7, s26, v4
	s_delay_alu instid0(VALU_DEP_1) | instskip(NEXT) | instid1(VALU_DEP_1)
	v_mul_hi_u32 v7, v4, v7
	v_add_nc_u32_e32 v4, v4, v7
	s_delay_alu instid0(VALU_DEP_1) | instskip(NEXT) | instid1(VALU_DEP_1)
	v_mul_hi_u32 v4, v5, v4
	v_mul_lo_u32 v7, v4, s24
	v_add_nc_u32_e32 v8, 1, v4
	s_delay_alu instid0(VALU_DEP_2) | instskip(NEXT) | instid1(VALU_DEP_1)
	v_sub_nc_u32_e32 v7, v5, v7
	v_subrev_nc_u32_e32 v9, s24, v7
	v_cmp_le_u32_e32 vcc_lo, s24, v7
	s_wait_alu 0xfffd
	s_delay_alu instid0(VALU_DEP_2) | instskip(NEXT) | instid1(VALU_DEP_1)
	v_dual_cndmask_b32 v7, v7, v9 :: v_dual_cndmask_b32 v4, v4, v8
	v_cmp_le_u32_e32 vcc_lo, s24, v7
	s_delay_alu instid0(VALU_DEP_2) | instskip(SKIP_1) | instid1(VALU_DEP_1)
	v_add_nc_u32_e32 v8, 1, v4
	s_wait_alu 0xfffd
	v_cndmask_b32_e32 v30, v4, v8, vcc_lo
.LBB0_6:                                ;   in Loop: Header=BB0_2 Depth=1
	s_wait_alu 0xfffe
	s_or_b32 exec_lo, exec_lo, s2
	v_mul_lo_u32 v4, v31, s24
	s_delay_alu instid0(VALU_DEP_2)
	v_mul_lo_u32 v9, v30, s25
	s_load_b64 s[26:27], s[18:19], 0x0
	v_mad_co_u64_u32 v[7:8], null, v30, s24, 0
	s_load_b64 s[24:25], s[16:17], 0x0
	s_add_nc_u64 s[20:21], s[20:21], 1
	s_add_nc_u64 s[16:17], s[16:17], 8
	s_wait_alu 0xfffe
	v_cmp_ge_u64_e64 s2, s[20:21], s[10:11]
	s_add_nc_u64 s[18:19], s[18:19], 8
	s_add_nc_u64 s[22:23], s[22:23], 8
	v_add3_u32 v4, v8, v9, v4
	v_sub_co_u32 v5, vcc_lo, v5, v7
	s_wait_alu 0xfffd
	s_delay_alu instid0(VALU_DEP_2) | instskip(SKIP_2) | instid1(VALU_DEP_1)
	v_sub_co_ci_u32_e32 v4, vcc_lo, v6, v4, vcc_lo
	s_and_b32 vcc_lo, exec_lo, s2
	s_wait_kmcnt 0x0
	v_mul_lo_u32 v6, s26, v4
	v_mul_lo_u32 v7, s27, v5
	v_mad_co_u64_u32 v[1:2], null, s26, v5, v[1:2]
	v_mul_lo_u32 v4, s24, v4
	v_mul_lo_u32 v8, s25, v5
	v_mad_co_u64_u32 v[26:27], null, s24, v5, v[26:27]
	s_delay_alu instid0(VALU_DEP_4) | instskip(NEXT) | instid1(VALU_DEP_2)
	v_add3_u32 v2, v7, v2, v6
	v_add3_u32 v27, v8, v27, v4
	s_wait_alu 0xfffe
	s_cbranch_vccnz .LBB0_9
; %bb.7:                                ;   in Loop: Header=BB0_2 Depth=1
	v_dual_mov_b32 v5, v30 :: v_dual_mov_b32 v6, v31
	s_branch .LBB0_2
.LBB0_8:
	v_dual_mov_b32 v27, v2 :: v_dual_mov_b32 v26, v1
	v_dual_mov_b32 v31, v6 :: v_dual_mov_b32 v30, v5
.LBB0_9:
	s_load_b64 s[0:1], s[0:1], 0x28
	v_mul_hi_u32 v3, 0x4ec4ec5, v0
	s_lshl_b64 s[10:11], s[10:11], 3
                                        ; implicit-def: $vgpr24
                                        ; implicit-def: $vgpr28
                                        ; implicit-def: $vgpr39
                                        ; implicit-def: $vgpr38
                                        ; implicit-def: $vgpr37
                                        ; implicit-def: $vgpr36
                                        ; implicit-def: $vgpr35
                                        ; implicit-def: $vgpr34
                                        ; implicit-def: $vgpr33
                                        ; implicit-def: $vgpr32
	s_wait_kmcnt 0x0
	v_cmp_gt_u64_e32 vcc_lo, s[0:1], v[30:31]
	v_cmp_le_u64_e64 s0, s[0:1], v[30:31]
	s_delay_alu instid0(VALU_DEP_1)
	s_and_saveexec_b32 s1, s0
	s_wait_alu 0xfffe
	s_xor_b32 s0, exec_lo, s1
; %bb.10:
	v_mul_u32_u24_e32 v1, 52, v3
                                        ; implicit-def: $vgpr3
	s_delay_alu instid0(VALU_DEP_1) | instskip(NEXT) | instid1(VALU_DEP_1)
	v_sub_nc_u32_e32 v24, v0, v1
                                        ; implicit-def: $vgpr0
                                        ; implicit-def: $vgpr1_vgpr2
	v_add_nc_u32_e32 v28, 52, v24
	v_add_nc_u32_e32 v39, 0x68, v24
	;; [unrolled: 1-line block ×9, first 2 shown]
; %bb.11:
	s_wait_alu 0xfffe
	s_or_saveexec_b32 s1, s0
	s_add_nc_u64 s[2:3], s[14:15], s[10:11]
	s_wait_alu 0xfffe
	s_xor_b32 exec_lo, exec_lo, s1
	s_cbranch_execz .LBB0_13
; %bb.12:
	s_add_nc_u64 s[10:11], s[12:13], s[10:11]
	v_lshlrev_b64_e32 v[1:2], 2, v[1:2]
	s_load_b64 s[10:11], s[10:11], 0x0
	s_wait_kmcnt 0x0
	v_mul_lo_u32 v6, s11, v30
	v_mul_lo_u32 v7, s10, v31
	v_mad_co_u64_u32 v[4:5], null, s10, v30, 0
	s_delay_alu instid0(VALU_DEP_1) | instskip(SKIP_1) | instid1(VALU_DEP_2)
	v_add3_u32 v5, v5, v7, v6
	v_mul_u32_u24_e32 v6, 52, v3
	v_lshlrev_b64_e32 v[3:4], 2, v[4:5]
	s_delay_alu instid0(VALU_DEP_2) | instskip(NEXT) | instid1(VALU_DEP_1)
	v_sub_nc_u32_e32 v24, v0, v6
	v_add_nc_u32_e32 v28, 52, v24
	s_delay_alu instid0(VALU_DEP_3) | instskip(SKIP_1) | instid1(VALU_DEP_4)
	v_add_co_u32 v0, s0, s4, v3
	s_wait_alu 0xf1ff
	v_add_co_ci_u32_e64 v3, s0, s5, v4, s0
	v_lshlrev_b32_e32 v4, 2, v24
	s_delay_alu instid0(VALU_DEP_3) | instskip(SKIP_1) | instid1(VALU_DEP_3)
	v_add_co_u32 v0, s0, v0, v1
	s_wait_alu 0xf1ff
	v_add_co_ci_u32_e64 v1, s0, v3, v2, s0
	v_add_nc_u32_e32 v39, 0x68, v24
	s_delay_alu instid0(VALU_DEP_3) | instskip(SKIP_1) | instid1(VALU_DEP_3)
	v_add_co_u32 v0, s0, v0, v4
	s_wait_alu 0xf1ff
	v_add_co_ci_u32_e64 v1, s0, 0, v1, s0
	s_clause 0x19
	global_load_b32 v2, v[0:1], off
	global_load_b32 v3, v[0:1], off offset:208
	global_load_b32 v5, v[0:1], off offset:416
	;; [unrolled: 1-line block ×25, first 2 shown]
	v_add_nc_u32_e32 v1, 0, v4
	v_add_nc_u32_e32 v38, 0x9c, v24
	;; [unrolled: 1-line block ×15, first 2 shown]
	s_wait_loadcnt 0x18
	ds_store_2addr_b32 v1, v2, v3 offset1:52
	s_wait_loadcnt 0x16
	ds_store_2addr_b32 v1, v5, v6 offset0:104 offset1:156
	s_wait_loadcnt 0x14
	ds_store_2addr_b32 v4, v7, v8 offset0:80 offset1:132
	;; [unrolled: 2-line block ×12, first 2 shown]
.LBB0_13:
	s_or_b32 exec_lo, exec_lo, s1
	v_lshlrev_b32_e32 v25, 2, v24
	s_load_b64 s[2:3], s[2:3], 0x0
	global_wb scope:SCOPE_SE
	s_wait_dscnt 0x0
	s_wait_kmcnt 0x0
	s_barrier_signal -1
	s_barrier_wait -1
	v_add_nc_u32_e32 v46, 0, v25
	global_inv scope:SCOPE_SE
	v_lshl_add_u32 v29, v28, 3, 0
	v_lshl_add_u32 v52, v39, 3, 0
	;; [unrolled: 1-line block ×3, first 2 shown]
	v_add_nc_u32_e32 v53, 0x800, v46
	v_add_nc_u32_e32 v56, 0x400, v46
	;; [unrolled: 1-line block ×7, first 2 shown]
	ds_load_2addr_b32 v[0:1], v46 offset1:52
	ds_load_2addr_b32 v[2:3], v53 offset0:112 offset1:164
	ds_load_2addr_b32 v[4:5], v4 offset0:96 offset1:148
	;; [unrolled: 1-line block ×12, first 2 shown]
	v_add_nc_u32_e32 v44, v46, v25
	v_lshl_add_u32 v51, v37, 3, 0
	global_wb scope:SCOPE_SE
	s_wait_dscnt 0x0
	s_barrier_signal -1
	s_barrier_wait -1
	global_inv scope:SCOPE_SE
	v_lshl_add_u32 v43, v36, 3, 0
	v_add_nc_u32_e32 v50, 0xea0, v44
	v_lshl_add_u32 v54, v35, 3, 0
	v_lshl_add_u32 v48, v33, 3, 0
	v_add_nc_u32_e32 v45, 0xb60, v44
	v_add_nc_u32_e32 v58, 0x11e0, v44
	v_lshl_add_u32 v49, v34, 3, 0
	v_lshl_add_u32 v47, v32, 3, 0
	v_pk_add_f16 v3, v0, v3 neg_lo:[0,1] neg_hi:[0,1]
	v_pk_add_f16 v5, v2, v5 neg_lo:[0,1] neg_hi:[0,1]
	;; [unrolled: 1-line block ×7, first 2 shown]
	v_pk_fma_f16 v0, v0, 2.0, v3 op_sel_hi:[1,0,1] neg_lo:[0,0,1] neg_hi:[0,0,1]
	v_pk_fma_f16 v18, v18, 2.0, v12 op_sel_hi:[1,0,1] neg_lo:[0,0,1] neg_hi:[0,0,1]
	;; [unrolled: 1-line block ×5, first 2 shown]
	ds_store_2addr_b32 v44, v0, v3 offset1:1
	ds_store_2addr_b32 v29, v1, v40 offset1:1
	;; [unrolled: 1-line block ×5, first 2 shown]
	v_and_b32_e32 v12, 1, v24
	v_pk_add_f16 v16, v19, v16 neg_lo:[0,1] neg_hi:[0,1]
	v_pk_add_f16 v13, v14, v13 neg_lo:[0,1] neg_hi:[0,1]
	;; [unrolled: 1-line block ×4, first 2 shown]
	v_mul_u32_u24_e32 v0, 12, v12
	v_pk_add_f16 v4, v15, v4 neg_lo:[0,1] neg_hi:[0,1]
	v_pk_add_f16 v9, v10, v9 neg_lo:[0,1] neg_hi:[0,1]
	v_pk_fma_f16 v11, v11, 2.0, v59 op_sel_hi:[1,0,1] neg_lo:[0,0,1] neg_hi:[0,0,1]
	v_pk_fma_f16 v19, v19, 2.0, v16 op_sel_hi:[1,0,1] neg_lo:[0,0,1] neg_hi:[0,0,1]
	v_lshlrev_b32_e32 v0, 2, v0
	v_pk_fma_f16 v14, v14, 2.0, v13 op_sel_hi:[1,0,1] neg_lo:[0,0,1] neg_hi:[0,0,1]
	v_pk_fma_f16 v6, v6, 2.0, v17 op_sel_hi:[1,0,1] neg_lo:[0,0,1] neg_hi:[0,0,1]
	;; [unrolled: 1-line block ×6, first 2 shown]
	ds_store_2addr_b32 v43, v19, v16 offset1:1
	ds_store_2addr_b32 v54, v6, v17 offset1:1
	;; [unrolled: 1-line block ×8, first 2 shown]
	global_wb scope:SCOPE_SE
	s_wait_dscnt 0x0
	s_barrier_signal -1
	s_barrier_wait -1
	global_inv scope:SCOPE_SE
	s_clause 0x2
	global_load_b128 v[8:11], v0, s[8:9] offset:32
	global_load_b128 v[4:7], v0, s[8:9] offset:16
	global_load_b128 v[0:3], v0, s[8:9]
	v_lshlrev_b32_e32 v29, 2, v33
	v_lshlrev_b32_e32 v50, 2, v32
	;; [unrolled: 1-line block ×6, first 2 shown]
	v_sub_nc_u32_e32 v42, v48, v29
	v_sub_nc_u32_e32 v43, v47, v50
	v_lshl_add_u32 v59, v28, 2, 0
	v_sub_nc_u32_e32 v63, v52, v58
	v_sub_nc_u32_e32 v64, v51, v61
	;; [unrolled: 1-line block ×4, first 2 shown]
	v_add_nc_u32_e32 v65, 0xe00, v46
	v_add_nc_u32_e32 v67, 0x600, v46
	ds_load_b32 v66, v42
	ds_load_b32 v69, v43
	ds_load_2addr_b32 v[71:72], v53 offset0:164 offset1:216
	ds_load_2addr_b32 v[74:75], v57 offset0:12 offset1:64
	ds_load_2addr_b32 v[76:77], v57 offset0:116 offset1:168
	ds_load_2addr_b32 v[78:79], v65 offset0:92 offset1:144
	ds_load_2addr_b32 v[14:15], v55 offset0:68 offset1:120
	ds_load_2addr_b32 v[16:17], v55 offset0:172 offset1:224
	ds_load_2addr_b32 v[81:82], v56 offset0:4 offset1:108
	ds_load_b32 v73, v46 offset:5200
	ds_load_2addr_b32 v[83:84], v67 offset0:84 offset1:188
	ds_load_b32 v87, v64
	ds_load_b32 v88, v70
	;; [unrolled: 1-line block ×3, first 2 shown]
	ds_load_2addr_b32 v[85:86], v46 offset1:156
	ds_load_b32 v90, v63
	ds_load_b32 v23, v59
	v_lshrrev_b32_e32 v13, 1, v24
	global_wb scope:SCOPE_SE
	s_wait_loadcnt_dscnt 0x0
	s_barrier_signal -1
	v_lshrrev_b32_e32 v91, 16, v66
	v_lshrrev_b32_e32 v92, 16, v69
	v_lshrrev_b32_e32 v99, 16, v71
	v_lshrrev_b32_e32 v93, 16, v72
	v_lshrrev_b32_e32 v22, 16, v77
	v_lshrrev_b32_e32 v45, 16, v79
	v_lshrrev_b32_e32 v97, 16, v14
	v_lshrrev_b32_e32 v80, 16, v15
	v_lshrrev_b32_e32 v95, 16, v17
	v_lshrrev_b32_e32 v96, 16, v78
	v_lshrrev_b32_e32 v98, 16, v16
	v_lshrrev_b32_e32 v101, 16, v73
	v_lshrrev_b32_e32 v100, 16, v74
	v_lshrrev_b32_e32 v103, 16, v81
	v_lshrrev_b32_e32 v104, 16, v84
	v_lshrrev_b32_e32 v107, 16, v90
	v_lshrrev_b32_e32 v105, 16, v82
	v_lshrrev_b32_e32 v106, 16, v83
	v_lshrrev_b32_e32 v108, 16, v87
	v_lshrrev_b32_e32 v109, 16, v88
	v_lshrrev_b32_e32 v102, 16, v76
	v_lshrrev_b32_e32 v112, 16, v85
	v_lshrrev_b32_e32 v94, 16, v75
	v_lshrrev_b32_e32 v110, 16, v89
	v_lshrrev_b32_e32 v111, 16, v86
	v_mul_u32_u24_e32 v13, 26, v13
	s_barrier_wait -1
	global_inv scope:SCOPE_SE
	v_cmp_gt_u32_e64 s0, 26, v24
	v_or_b32_e32 v13, v13, v12
	s_delay_alu instid0(VALU_DEP_1)
	v_lshl_add_u32 v13, v13, 2, 0
	v_lshrrev_b32_e32 v18, 16, v9
	v_lshrrev_b32_e32 v19, 16, v10
	v_lshrrev_b32_e32 v21, 16, v11
	v_lshrrev_b32_e32 v41, 16, v8
	v_lshrrev_b32_e32 v115, 16, v5
	v_lshrrev_b32_e32 v120, 16, v0
	v_mul_f16_e32 v126, v97, v18
	v_mul_f16_e32 v40, v16, v19
	;; [unrolled: 1-line block ×3, first 2 shown]
	v_lshrrev_b32_e32 v113, 16, v4
	v_lshrrev_b32_e32 v116, 16, v6
	;; [unrolled: 1-line block ×5, first 2 shown]
	v_mul_f16_e32 v121, v45, v18
	v_mul_f16_e32 v122, v80, v19
	v_mul_f16_e32 v123, v95, v21
	v_mul_f16_e32 v124, v98, v19
	v_mul_f16_e32 v125, v15, v19
	v_mul_f16_e32 v127, v17, v21
	v_mul_f16_e32 v19, v96, v41
	v_mul_f16_e64 v128, v77, v41
	v_mul_f16_e64 v129, v79, v18
	v_mul_f16_e32 v18, v78, v41
	v_mul_f16_e64 v130, v22, v41
	v_mul_f16_e64 v131, v101, v21
	v_mul_f16_e32 v68, v73, v21
	v_fma_f16 v21, v14, v9, -v126
	v_mul_f16_e32 v126, v99, v115
	v_fmac_f16_e32 v20, v97, v9
	v_fmac_f16_e32 v40, v98, v10
	v_mul_f16_e32 v97, v120, v107
	v_mul_f16_e32 v98, v120, v90
	v_lshrrev_b32_e32 v114, 16, v7
	v_mul_f16_e64 v133, v91, v113
	v_mul_f16_e64 v134, v93, v116
	v_fma_f16 v123, v17, v11, -v123
	v_fma_f16 v41, v16, v10, -v124
	v_mul_f16_e32 v124, v100, v116
	v_fma_f16 v122, v15, v10, -v122
	v_mul_f16_e32 v14, v74, v116
	v_fma_f16 v121, v79, v9, -v121
	v_fma_f16 v19, v78, v8, -v19
	v_mul_f16_e32 v78, v66, v113
	v_mul_f16_e32 v116, v72, v116
	;; [unrolled: 1-line block ×3, first 2 shown]
	v_fmac_f16_e64 v128, v22, v8
	v_mul_f16_e32 v79, v92, v115
	v_mul_f16_e32 v115, v69, v115
	v_fmac_f16_e64 v129, v45, v9
	v_mul_f16_e32 v17, v84, v113
	v_mul_f16_e32 v113, v104, v113
	v_mul_f16_e64 v136, v103, v117
	v_fmac_f16_e32 v127, v95, v11
	v_mul_f16_e32 v95, v105, v118
	v_fmac_f16_e32 v18, v96, v8
	v_mul_f16_e32 v45, v81, v117
	v_mul_f16_e32 v96, v106, v119
	;; [unrolled: 1-line block ×3, first 2 shown]
	v_fmac_f16_e32 v68, v101, v11
	v_fma_f16 v77, v77, v8, -v130
	v_mul_f16_e32 v101, v117, v108
	v_mul_f16_e32 v117, v117, v87
	v_mul_f16_e64 v130, v109, v118
	v_mul_f16_e32 v118, v88, v118
	v_fma_f16 v9, v71, v5, -v126
	v_fma_f16 v71, v0, v90, -v97
	v_fmac_f16_e32 v98, v0, v107
	v_mul_f16_e64 v132, v102, v114
	v_fma_f16 v73, v73, v11, -v131
	v_mul_f16_e32 v11, v83, v119
	v_fma_f16 v8, v74, v6, -v124
	v_fma_f16 v72, v72, v6, -v134
	;; [unrolled: 1-line block ×3, first 2 shown]
	v_fmac_f16_e32 v78, v91, v4
	v_fma_f16 v69, v69, v5, -v79
	v_fmac_f16_e32 v115, v92, v5
	v_fmac_f16_e32 v116, v93, v6
	;; [unrolled: 1-line block ×5, first 2 shown]
	v_fma_f16 v4, v84, v4, -v113
	v_fma_f16 v6, v82, v2, -v95
	;; [unrolled: 1-line block ×4, first 2 shown]
	v_fmac_f16_e32 v117, v1, v108
	v_fma_f16 v84, v88, v2, -v130
	v_fmac_f16_e32 v118, v109, v2
	v_fmac_f16_e32 v22, v105, v2
	v_add_f16_e32 v2, v71, v85
	v_add_f16_e32 v88, v98, v112
	v_mul_f16_e64 v135, v94, v114
	v_mul_f16_e32 v16, v76, v114
	v_mul_f16_e32 v114, v75, v114
	v_fmac_f16_e32 v125, v80, v10
	v_mul_f16_e64 v131, v110, v119
	v_mul_f16_e32 v119, v89, v119
	v_fma_f16 v10, v76, v7, -v132
	v_mul_f16_e32 v80, v86, v120
	v_mul_f16_e32 v76, v111, v120
	v_add_f16_e32 v88, v88, v117
	v_add_f16_e32 v2, v2, v83
	v_fma_f16 v75, v75, v7, -v135
	v_fmac_f16_e32 v114, v94, v7
	v_fmac_f16_e32 v16, v102, v7
	v_fma_f16 v7, v81, v1, -v136
	v_fma_f16 v87, v89, v3, -v131
	v_fmac_f16_e32 v119, v110, v3
	v_fmac_f16_e32 v80, v111, v0
	;; [unrolled: 1-line block ×3, first 2 shown]
	v_fma_f16 v86, v86, v0, -v76
	v_sub_f16_e32 v0, v98, v127
	v_add_f16_e32 v1, v71, v123
	v_sub_f16_e32 v71, v71, v123
	v_add_f16_e32 v2, v2, v84
	v_add_f16_e32 v88, v88, v118
	v_fmac_f16_e32 v11, v106, v3
	v_sub_f16_e32 v3, v117, v125
	v_add_f16_e32 v76, v83, v122
	v_add_f16_e32 v89, v98, v127
	v_sub_f16_e32 v91, v83, v122
	v_mul_f16_e32 v104, 0xb770, v0
	v_mul_f16_e32 v83, 0xb770, v71
	v_add_f16_e32 v2, v2, v87
	v_add_f16_e32 v88, v88, v119
	;; [unrolled: 1-line block ×3, first 2 shown]
	v_sub_f16_e64 v92, v118, v129
	v_add_f16_e32 v93, v84, v121
	v_sub_f16_e32 v94, v84, v121
	v_sub_f16_e32 v102, v78, v114
	v_add_f16_e32 v103, v78, v114
	v_mul_f16_e32 v109, 0xba95, v3
	v_mul_f16_e32 v110, 0xba95, v91
	v_fma_f16 v132, v1, 0x3b15, -v104
	v_fmamk_f16 v84, v89, 0x3b15, v83
	v_add_f16_e32 v2, v2, v66
	v_add_f16_e32 v78, v88, v78
	v_add_f16_e64 v95, v118, v129
	v_add_f16_e32 v97, v87, v77
	v_sub_f16_e32 v98, v87, v77
	v_mul_f16_e32 v111, 0xbbf1, v92
	v_fma_f16 v118, v76, 0x388b, -v109
	v_add_f16_e64 v132, v132, v85
	v_fmamk_f16 v87, v90, 0x388b, v110
	v_add_f16_e32 v84, v84, v112
	v_add_f16_e32 v2, v2, v69
	;; [unrolled: 1-line block ×3, first 2 shown]
	v_sub_f16_e64 v96, v119, v128
	v_mul_f16_e32 v113, 0xbbf1, v94
	v_add_f16_e64 v118, v118, v132
	v_add_f16_e32 v84, v87, v84
	v_fma_f16 v87, v93, 0x2fb7, -v111
	v_add_f16_e32 v2, v2, v72
	v_add_f16_e32 v78, v78, v116
	v_add_f16_e64 v99, v119, v128
	v_sub_f16_e32 v101, v66, v75
	v_mul_f16_e32 v117, 0xbb7b, v96
	v_mul_f16_e32 v120, 0xbb7b, v98
	v_add_f16_e32 v87, v87, v118
	v_fmamk_f16 v118, v95, 0x2fb7, v113
	v_add_f16_e32 v2, v2, v75
	v_add_f16_e32 v78, v78, v114
	;; [unrolled: 1-line block ×3, first 2 shown]
	v_sub_f16_e32 v82, v69, v72
	v_sub_f16_e32 v74, v115, v116
	v_add_f16_e32 v100, v66, v75
	v_mul_f16_e32 v124, 0xb94e, v102
	v_mul_f16_e32 v126, 0xb94e, v101
	v_add_f16_e32 v84, v118, v84
	v_fma_f16 v118, v97, 0xb5ac, -v117
	v_fmamk_f16 v72, v99, 0xb5ac, v120
	v_add_f16_e32 v2, v2, v77
	v_add_f16_e64 v78, v78, v128
	v_add_f16_e32 v79, v115, v116
	v_mul_f16_e64 v130, 0xb3a8, v74
	v_mul_f16_e64 v131, 0xb3a8, v82
	v_add_f16_e32 v87, v118, v87
	v_add_f16_e32 v72, v72, v84
	v_fma_f16 v84, v100, 0xb9fd, -v124
	v_fmamk_f16 v75, v103, 0xb9fd, v126
	v_add_f16_e32 v2, v2, v121
	v_add_f16_e64 v78, v78, v129
	v_fma_f16 v77, 0xbbc4, v79, v131
	v_add_f16_e32 v84, v84, v87
	v_add_f16_e32 v72, v75, v72
	v_fma_f16 v75, v81, 0xbbc4, -v130
	v_add_f16_e32 v2, v2, v122
	v_add_f16_e32 v78, v78, v125
	v_mul_f16_e32 v105, 0xba95, v0
	v_mul_f16_e32 v106, 0xbbf1, v0
	;; [unrolled: 1-line block ×5, first 2 shown]
	v_mul_f16_e64 v132, 0xba95, v71
	v_add_f16_e32 v75, v75, v84
	v_add_f16_e32 v72, v77, v72
	;; [unrolled: 1-line block ×4, first 2 shown]
	v_mul_f16_e32 v119, 0xbb7b, v3
	v_mul_f16_e32 v66, 0xbb7b, v91
	;; [unrolled: 1-line block ×4, first 2 shown]
	v_fmac_f16_e32 v104, 0x3b15, v1
	v_fma_f16 v129, v1, 0x388b, -v105
	v_fmac_f16_e32 v105, 0x388b, v1
	v_fma_f16 v122, v1, 0x2fb7, -v106
	;; [unrolled: 2-line block ×5, first 2 shown]
	v_fmac_f16_e32 v0, 0xbbc4, v1
	v_pack_b32_f16 v72, v75, v72
	v_pack_b32_f16 v2, v2, v78
	v_fma_f16 v78, 0x388b, v89, v132
	v_mul_f16_e32 v115, 0xb3a8, v91
	v_mul_f16_e32 v116, 0xb3a8, v92
	;; [unrolled: 1-line block ×3, first 2 shown]
	v_add_f16_e32 v104, v104, v85
	v_add_f16_e64 v129, v129, v85
	v_add_f16_e32 v105, v105, v85
	v_add_f16_e32 v122, v122, v85
	;; [unrolled: 1-line block ×9, first 2 shown]
	v_fma_f16 v85, v76, 0xb5ac, -v119
	v_fma_f16 v133, 0xb5ac, v90, v66
	ds_store_2addr_b32 v13, v2, v72 offset1:2
	v_fmamk_f16 v2, v89, 0x2fb7, v69
	v_add_f16_e32 v72, v78, v112
	v_fma_f16 v78, v76, 0xbbc4, -v88
	v_mul_f16_e32 v114, 0x3b7b, v92
	v_mul_f16_e32 v87, 0x3b7b, v94
	v_mul_f16_e64 v128, 0x394e, v96
	v_add_f16_e64 v85, v85, v129
	v_fma_f16 v129, 0xbbc4, v90, v115
	v_add_f16_e32 v2, v2, v112
	v_add_f16_e64 v72, v133, v72
	v_fma_f16 v133, v93, 0xbbc4, -v116
	v_add_f16_e32 v78, v78, v122
	v_fmamk_f16 v122, v95, 0xbbc4, v118
	v_mul_f16_e32 v84, 0x394e, v98
	v_mul_f16_e32 v77, 0x3770, v96
	;; [unrolled: 1-line block ×3, first 2 shown]
	v_add_f16_e64 v2, v129, v2
	v_fma_f16 v129, v93, 0xb5ac, -v114
	v_add_f16_e64 v85, v133, v85
	v_fma_f16 v133, 0xb5ac, v95, v87
	v_add_f16_e32 v72, v122, v72
	v_fma_f16 v122, v97, 0xb9fd, -v128
	v_mul_f16_e32 v1, 0x3bf1, v102
	v_mul_f16_e32 v75, 0x3bf1, v101
	v_add_f16_e64 v78, v129, v78
	v_fma_f16 v129, 0xb9fd, v99, v84
	v_add_f16_e64 v2, v133, v2
	v_fma_f16 v133, v97, 0x3b15, -v77
	v_add_f16_e32 v85, v122, v85
	v_fmamk_f16 v122, v99, 0x3b15, v121
	v_add_f16_e64 v72, v129, v72
	v_mul_f16_e64 v129, 0xba95, v102
	v_add_f16_e64 v78, v133, v78
	v_fma_f16 v133, v100, 0x2fb7, -v1
	v_add_f16_e32 v2, v122, v2
	v_fmamk_f16 v122, v103, 0x2fb7, v75
	v_fma_f16 v69, v89, 0x2fb7, -v69
	v_fmac_f16_e32 v109, 0x388b, v76
	v_add_f16_e64 v85, v133, v85
	v_fma_f16 v133, v100, 0x388b, -v129
	v_add_f16_e32 v72, v122, v72
	v_mul_f16_e32 v122, 0xba95, v101
	v_fma_f16 v66, v90, 0xb5ac, -v66
	v_add_f16_e32 v69, v69, v112
	v_add_f16_e64 v78, v133, v78
	v_add_f16_e32 v104, v109, v104
	v_fma_f16 v133, 0x388b, v103, v122
	v_fma_f16 v109, v90, 0x388b, -v110
	v_mul_f16_e32 v110, 0x394e, v91
	v_fmac_f16_e32 v88, 0xbbc4, v76
	v_fmac_f16_e32 v119, 0xb5ac, v76
	v_add_f16_e64 v2, v133, v2
	v_mul_f16_e64 v133, 0x3770, v74
	v_fmac_f16_e32 v111, 0x2fb7, v93
	v_add_f16_e32 v88, v88, v106
	v_add_f16_e32 v105, v119, v105
	v_fmac_f16_e32 v116, 0xbbc4, v93
	v_fma_f16 v134, v81, 0x3b15, -v133
	v_fma_f16 v87, v95, 0xb5ac, -v87
	v_fmac_f16_e32 v114, 0xb5ac, v93
	v_fmac_f16_e64 v128, 0xb9fd, v97
	v_fma_f16 v84, v99, 0xb9fd, -v84
	v_add_f16_e64 v85, v134, v85
	v_mul_f16_e64 v134, 0x3770, v82
	v_add_f16_e32 v88, v114, v88
	v_fmac_f16_e32 v77, 0x3b15, v97
	v_fmac_f16_e32 v1, 0x2fb7, v100
	;; [unrolled: 1-line block ×3, first 2 shown]
	v_fma_f16 v135, 0x3b15, v79, v134
	v_fmac_f16_e32 v124, 0xb9fd, v100
	v_add_f16_e32 v77, v77, v88
	v_mul_f16_e32 v88, 0x33a8, v96
	v_fmac_f16_e64 v129, 0x388b, v100
	v_add_f16_e64 v72, v135, v72
	v_mul_f16_e64 v135, 0xb94e, v74
	v_fmac_f16_e64 v130, 0xbbc4, v81
	v_fmac_f16_e64 v133, 0x3b15, v81
	v_add_f16_e64 v77, v129, v77
	v_pack_b32_f16 v72, v85, v72
	v_fma_f16 v136, v81, 0xb9fd, -v135
	v_fmac_f16_e64 v135, 0xb9fd, v81
	s_delay_alu instid0(VALU_DEP_2) | instskip(SKIP_1) | instid1(VALU_DEP_1)
	v_add_f16_e64 v78, v136, v78
	v_mul_f16_e64 v136, 0xb94e, v82
	v_fma_f16 v137, 0xb9fd, v79, v136
	s_delay_alu instid0(VALU_DEP_1) | instskip(NEXT) | instid1(VALU_DEP_1)
	v_add_f16_e64 v2, v137, v2
	v_pack_b32_f16 v2, v78, v2
	v_mul_f16_e32 v78, 0xbb7b, v71
	ds_store_2addr_b32 v13, v72, v2 offset0:4 offset1:6
	v_fma_f16 v72, v89, 0x388b, -v132
	v_fma_f16 v2, v89, 0x3b15, -v83
	v_mul_f16_e32 v83, 0xb94e, v71
	v_mul_f16_e32 v71, 0xb3a8, v71
	v_fmamk_f16 v85, v89, 0xb5ac, v78
	v_add_f16_e32 v72, v72, v112
	v_add_f16_e32 v2, v2, v112
	v_fma_f16 v78, v89, 0xb5ac, -v78
	v_fma_f16 v132, 0xb9fd, v89, v83
	v_fma_f16 v83, v89, 0xb9fd, -v83
	v_add_f16_e32 v66, v66, v72
	v_fma_f16 v72, v90, 0xbbc4, -v115
	v_fma_f16 v137, 0xbbc4, v89, v71
	v_fma_f16 v71, v89, 0xbbc4, -v71
	v_add_f16_e32 v85, v85, v112
	v_add_f16_e32 v2, v109, v2
	v_mul_f16_e32 v109, 0x394e, v3
	v_add_f16_e32 v69, v72, v69
	v_fmamk_f16 v72, v90, 0xb9fd, v110
	v_add_f16_e32 v78, v78, v112
	v_add_f16_e64 v89, v132, v112
	v_add_f16_e32 v83, v83, v112
	v_add_f16_e64 v132, v137, v112
	v_add_f16_e32 v71, v71, v112
	v_fma_f16 v106, v76, 0xb9fd, -v109
	v_fmac_f16_e32 v109, 0xb9fd, v76
	v_mul_f16_e32 v112, 0x3bf1, v3
	v_add_f16_e32 v72, v72, v85
	v_fma_f16 v85, v90, 0xb9fd, -v110
	v_mul_f16_e32 v110, 0x3bf1, v91
	v_add_f16_e32 v107, v109, v107
	v_fma_f16 v109, v76, 0x2fb7, -v112
	v_fmac_f16_e32 v112, 0x2fb7, v76
	v_add_f16_e32 v78, v85, v78
	v_fmamk_f16 v85, v90, 0x2fb7, v110
	v_mul_f16_e32 v3, 0x3770, v3
	v_mul_f16_e32 v91, 0x3770, v91
	v_add_f16_e32 v106, v106, v125
	v_add_f16_e32 v69, v87, v69
	;; [unrolled: 1-line block ×4, first 2 shown]
	v_fma_f16 v108, v90, 0x2fb7, -v110
	v_fma_f16 v110, v76, 0x3b15, -v3
	v_fmac_f16_e32 v3, 0x3b15, v76
	v_fma_f16 v76, v90, 0x3b15, -v91
	v_fmamk_f16 v112, v90, 0x3b15, v91
	v_add_f16_e32 v83, v108, v83
	v_fma_f16 v108, v95, 0x2fb7, -v113
	v_add_f16_e32 v0, v3, v0
	v_add_f16_e32 v3, v76, v71
	v_mul_f16_e32 v76, 0x3770, v92
	v_add_f16_e32 v90, v110, v127
	v_add_f16_e32 v71, v111, v104
	;; [unrolled: 1-line block ×4, first 2 shown]
	v_fma_f16 v105, v95, 0xbbc4, -v118
	v_fma_f16 v108, v93, 0x3b15, -v76
	v_mul_f16_e32 v110, 0x3770, v94
	v_fmac_f16_e32 v76, 0x3b15, v93
	v_add_f16_e64 v91, v112, v132
	v_add_f16_e32 v66, v105, v66
	v_add_f16_e32 v87, v108, v106
	v_fmamk_f16 v105, v95, 0x3b15, v110
	v_fma_f16 v108, v95, 0x3b15, -v110
	v_mul_f16_e32 v110, 0xba95, v94
	v_mul_f16_e32 v106, 0xba95, v92
	v_add_f16_e32 v76, v76, v107
	v_mul_f16_e32 v92, 0xb94e, v92
	v_mul_f16_e32 v94, 0xb94e, v94
	v_fmamk_f16 v107, v95, 0x388b, v110
	v_add_f16_e32 v72, v105, v72
	v_fma_f16 v105, v93, 0x388b, -v106
	v_add_f16_e32 v78, v108, v78
	v_fmac_f16_e32 v106, 0x388b, v93
	v_add_f16_e32 v85, v107, v85
	v_fma_f16 v107, v93, 0xb9fd, -v92
	v_fmac_f16_e32 v92, 0xb9fd, v93
	v_fmamk_f16 v108, v95, 0xb9fd, v94
	v_fma_f16 v93, v95, 0xb9fd, -v94
	v_fma_f16 v94, v99, 0xb5ac, -v120
	v_add_f16_e32 v89, v106, v89
	v_add_f16_e32 v0, v92, v0
	v_mul_f16_e32 v92, 0xbbf1, v96
	v_fma_f16 v106, v95, 0x388b, -v110
	v_add_f16_e32 v3, v93, v3
	v_add_f16_e32 v2, v94, v2
	v_add_f16_e64 v93, v128, v104
	v_fma_f16 v94, v99, 0x3b15, -v121
	v_fma_f16 v95, v97, 0x2fb7, -v92
	v_mul_f16_e32 v104, 0xbbf1, v98
	v_add_f16_e32 v66, v84, v66
	v_fmac_f16_e32 v92, 0x2fb7, v97
	v_add_f16_e32 v69, v94, v69
	v_add_f16_e32 v84, v95, v87
	v_fmamk_f16 v87, v99, 0x2fb7, v104
	v_fma_f16 v94, v99, 0x2fb7, -v104
	v_mul_f16_e32 v95, 0x33a8, v98
	v_add_f16_e32 v76, v92, v76
	v_add_f16_e32 v83, v106, v83
	;; [unrolled: 1-line block ×3, first 2 shown]
	v_fma_f16 v87, v97, 0xbbc4, -v88
	v_add_f16_e32 v78, v94, v78
	v_fmamk_f16 v92, v99, 0xbbc4, v95
	v_fmac_f16_e32 v88, 0xbbc4, v97
	v_mul_f16_e32 v94, 0x3a95, v96
	v_mul_f16_e32 v96, 0x3a95, v98
	v_add_f16_e32 v90, v107, v90
	v_add_f16_e32 v91, v108, v91
	;; [unrolled: 1-line block ×4, first 2 shown]
	v_fma_f16 v89, v99, 0xbbc4, -v95
	v_fma_f16 v92, v97, 0x388b, -v94
	v_fmamk_f16 v95, v99, 0x388b, v96
	v_fmac_f16_e32 v94, 0x388b, v97
	v_add_f16_e32 v109, v109, v123
	v_add_f16_e32 v83, v89, v83
	v_add_f16_e32 v89, v92, v90
	v_add_f16_e32 v90, v95, v91
	v_fma_f16 v91, v103, 0xb9fd, -v126
	v_add_f16_e32 v0, v94, v0
	v_add_f16_e32 v92, v1, v93
	v_fma_f16 v1, v103, 0x2fb7, -v75
	v_fma_f16 v75, v103, 0x388b, -v122
	v_add_f16_e32 v2, v91, v2
	v_mul_f16_e32 v91, 0x33a8, v102
	v_mul_f16_e32 v94, 0x33a8, v101
	v_add_f16_e32 v105, v105, v109
	v_add_f16_e32 v66, v1, v66
	;; [unrolled: 1-line block ×3, first 2 shown]
	v_fma_f16 v93, v100, 0xbbc4, -v91
	v_fmamk_f16 v1, v103, 0xbbc4, v94
	v_fmac_f16_e32 v91, 0xbbc4, v100
	v_add_f16_e32 v87, v87, v105
	v_fma_f16 v96, v99, 0x388b, -v96
	v_add_f16_e32 v75, v93, v84
	v_mul_f16_e32 v84, 0x3770, v102
	v_mul_f16_e32 v93, 0x3770, v101
	v_add_f16_e32 v72, v1, v72
	v_add_f16_e32 v76, v91, v76
	v_fma_f16 v94, v103, 0xbbc4, -v94
	v_fma_f16 v1, v100, 0x3b15, -v84
	v_fmamk_f16 v91, v103, 0x3b15, v93
	v_fmac_f16_e32 v84, 0x3b15, v100
	v_add_f16_e32 v71, v117, v71
	v_add_f16_e32 v3, v96, v3
	;; [unrolled: 1-line block ×3, first 2 shown]
	v_mul_f16_e32 v1, 0xbb7b, v102
	v_add_f16_e32 v85, v91, v85
	v_mul_f16_e32 v91, 0xbb7b, v101
	v_add_f16_e32 v78, v94, v78
	v_add_f16_e32 v84, v84, v88
	v_fma_f16 v88, v103, 0x3b15, -v93
	v_fma_f16 v93, v100, 0xb5ac, -v1
	v_fmamk_f16 v94, v103, 0xb5ac, v91
	v_fma_f16 v91, v103, 0xb5ac, -v91
	v_add_f16_e32 v71, v124, v71
	v_fmac_f16_e32 v1, 0xb5ac, v100
	v_add_f16_e32 v83, v88, v83
	v_add_f16_e32 v88, v93, v89
	;; [unrolled: 1-line block ×3, first 2 shown]
	v_fma_f16 v3, v79, 0x3b15, -v134
	v_lshrrev_b32_e32 v93, 16, v23
	v_add_f16_e32 v89, v94, v90
	v_add_f16_e32 v90, v1, v0
	v_add_f16_e64 v0, v130, v71
	v_fma_f16 v1, v79, 0xbbc4, -v131
	v_add_f16_e32 v3, v3, v66
	v_add_f16_e64 v66, v135, v77
	v_add_f16_e32 v71, v80, v93
	v_fma_f16 v77, v79, 0xb9fd, -v136
	v_mul_f16_e32 v94, 0x3a95, v82
	v_add_f16_e32 v95, v86, v23
	v_add_f16_e32 v1, v1, v2
	v_add_f16_e64 v2, v133, v92
	v_mul_f16_e32 v92, 0x3a95, v74
	v_add_f16_e32 v71, v71, v45
	v_add_f16_e32 v69, v77, v69
	v_fmamk_f16 v77, v79, 0x388b, v94
	v_add_f16_e32 v95, v95, v7
	v_fma_f16 v96, v81, 0x388b, -v92
	v_add_f16_e32 v71, v71, v22
	v_fmac_f16_e32 v92, 0x388b, v81
	v_add_f16_e32 v77, v77, v72
	v_add_f16_e32 v72, v95, v6
	;; [unrolled: 1-line block ×5, first 2 shown]
	v_fma_f16 v76, v79, 0x388b, -v94
	v_add_f16_e32 v92, v72, v5
	v_mul_f16_e32 v96, 0xbb7b, v74
	v_add_f16_e32 v94, v95, v17
	v_mul_f16_e32 v97, 0xbb7b, v82
	v_add_f16_e32 v72, v76, v78
	v_add_f16_e32 v78, v92, v4
	v_fma_f16 v95, v81, 0xb5ac, -v96
	v_add_f16_e32 v92, v94, v15
	v_fmac_f16_e32 v96, 0xb5ac, v81
	v_mul_f16_e32 v82, 0x3bf1, v82
	v_add_f16_e32 v94, v78, v9
	v_add_f16_e32 v76, v95, v87
	v_fmamk_f16 v87, v79, 0xb5ac, v97
	v_add_f16_e32 v92, v92, v14
	v_mul_f16_e32 v95, 0x3bf1, v74
	v_add_f16_e32 v74, v96, v84
	v_add_f16_e32 v84, v94, v8
	;; [unrolled: 1-line block ×4, first 2 shown]
	v_fma_f16 v87, v81, 0x2fb7, -v95
	v_fmac_f16_e32 v95, 0x2fb7, v81
	v_add_f16_e32 v81, v84, v10
	v_fmamk_f16 v92, v79, 0x2fb7, v82
	v_add_f16_e32 v84, v85, v18
	v_fma_f16 v85, v79, 0xb5ac, -v97
	v_fma_f16 v79, v79, 0x2fb7, -v82
	v_add_f16_e32 v94, v81, v19
	v_add_f16_e32 v82, v87, v88
	v_add_f16_e32 v84, v84, v20
	v_add_f16_e32 v81, v85, v83
	v_add_f16_e32 v83, v92, v89
	v_add_f16_e32 v87, v94, v21
	v_sub_f16_e32 v89, v80, v68
	v_add_f16_e32 v88, v84, v40
	v_add_f16_e32 v84, v95, v90
	;; [unrolled: 1-line block ×4, first 2 shown]
	v_mul_f16_e32 v90, 0xb770, v89
	v_add_f16_e32 v79, v88, v68
	v_add_f16_e32 v88, v86, v73
	;; [unrolled: 1-line block ×4, first 2 shown]
	v_mul_f16_e32 v87, 0xba95, v89
	v_mul_f16_e32 v91, 0xbbf1, v89
	;; [unrolled: 1-line block ×5, first 2 shown]
	v_sub_f16_e32 v73, v86, v73
	v_fma_f16 v86, v88, 0x3b15, -v90
	v_fmac_f16_e32 v90, 0x3b15, v88
	v_fma_f16 v92, v88, 0x388b, -v87
	v_fmac_f16_e32 v87, 0x388b, v88
	;; [unrolled: 2-line block ×6, first 2 shown]
	v_add_f16_e32 v86, v86, v23
	v_add_f16_e32 v88, v90, v23
	;; [unrolled: 1-line block ×10, first 2 shown]
	v_mul_f16_e32 v98, 0xb770, v73
	v_add_f16_e32 v99, v99, v23
	v_mul_f16_e32 v100, 0xba95, v73
	v_add_f16_e32 v23, v89, v23
	v_mul_f16_e32 v89, 0xbbf1, v73
	v_fmamk_f16 v101, v80, 0x3b15, v98
	v_mul_f16_e32 v103, 0xbb7b, v73
	v_fmamk_f16 v102, v80, 0x388b, v100
	;; [unrolled: 2-line block ×3, first 2 shown]
	v_mul_f16_e32 v73, 0xb3a8, v73
	v_fma_f16 v98, v80, 0x3b15, -v98
	v_fma_f16 v100, v80, 0x388b, -v100
	v_fma_f16 v89, v80, 0x2fb7, -v89
	v_fmamk_f16 v106, v80, 0xb5ac, v103
	v_fma_f16 v103, v80, 0xb5ac, -v103
	v_fmamk_f16 v107, v80, 0xb9fd, v105
	v_fma_f16 v105, v80, 0xb9fd, -v105
	;; [unrolled: 2-line block ×3, first 2 shown]
	v_add_f16_e32 v80, v101, v93
	v_add_f16_e32 v101, v102, v93
	;; [unrolled: 1-line block ×3, first 2 shown]
	v_sub_f16_e32 v104, v45, v40
	v_add_f16_e32 v109, v7, v41
	v_sub_f16_e32 v7, v7, v41
	v_add_f16_e32 v40, v45, v40
	v_add_f16_e32 v98, v98, v93
	v_mul_f16_e32 v41, 0xba95, v104
	v_add_f16_e32 v100, v100, v93
	v_mul_f16_e32 v45, 0xba95, v7
	v_add_f16_e32 v89, v89, v93
	v_add_f16_e32 v106, v106, v93
	v_fma_f16 v110, v109, 0x388b, -v41
	v_add_f16_e32 v103, v103, v93
	v_add_f16_e32 v107, v107, v93
	;; [unrolled: 1-line block ×5, first 2 shown]
	v_fmamk_f16 v93, v40, 0x388b, v45
	v_add_f16_e32 v86, v110, v86
	v_mul_f16_e32 v110, 0xbb7b, v104
	v_fmac_f16_e32 v41, 0x388b, v109
	v_fma_f16 v45, v40, 0x388b, -v45
	v_add_f16_e32 v80, v93, v80
	v_mul_f16_e32 v93, 0xbb7b, v7
	v_fma_f16 v111, v109, 0xb5ac, -v110
	v_add_f16_e32 v41, v41, v88
	v_mul_f16_e32 v88, 0xb3a8, v104
	v_add_f16_e32 v45, v45, v98
	v_fmamk_f16 v98, v40, 0xb5ac, v93
	v_add_f16_e32 v90, v111, v90
	v_fmac_f16_e32 v110, 0xb5ac, v109
	v_fma_f16 v111, v109, 0xbbc4, -v88
	v_fma_f16 v93, v40, 0xb5ac, -v93
	v_add_f16_e32 v98, v98, v101
	v_mul_f16_e32 v101, 0xb3a8, v7
	v_fmac_f16_e32 v88, 0xbbc4, v109
	v_add_f16_e32 v92, v111, v92
	v_mul_f16_e32 v111, 0x394e, v7
	v_add_f16_e32 v87, v110, v87
	v_add_f16_e32 v93, v93, v100
	v_mul_f16_e32 v100, 0x394e, v104
	v_fmamk_f16 v110, v40, 0xbbc4, v101
	v_fma_f16 v101, v40, 0xbbc4, -v101
	v_add_f16_e32 v88, v88, v91
	v_fmamk_f16 v91, v40, 0xb9fd, v111
	v_fma_f16 v112, v109, 0xb9fd, -v100
	v_add_f16_e32 v102, v110, v102
	v_add_f16_e32 v89, v101, v89
	v_fmac_f16_e32 v100, 0xb9fd, v109
	v_mul_f16_e32 v101, 0x3bf1, v104
	v_mul_f16_e32 v110, 0x3bf1, v7
	v_add_f16_e32 v91, v91, v106
	v_fma_f16 v106, v40, 0xb9fd, -v111
	v_add_f16_e32 v94, v100, v94
	v_fma_f16 v100, v109, 0x2fb7, -v101
	v_fmamk_f16 v111, v40, 0x2fb7, v110
	v_fmac_f16_e32 v101, 0x2fb7, v109
	v_add_f16_e32 v103, v106, v103
	v_mul_f16_e32 v104, 0x3770, v104
	v_mul_f16_e32 v7, 0x3770, v7
	v_sub_f16_e32 v106, v22, v20
	v_add_f16_e32 v97, v100, v97
	v_add_f16_e32 v100, v111, v107
	;; [unrolled: 1-line block ×3, first 2 shown]
	v_fma_f16 v101, v109, 0x3b15, -v104
	v_fmac_f16_e32 v104, 0x3b15, v109
	v_fma_f16 v107, v40, 0x2fb7, -v110
	v_fmamk_f16 v109, v40, 0x3b15, v7
	v_fma_f16 v7, v40, 0x3b15, -v7
	v_add_f16_e32 v40, v6, v21
	v_mul_f16_e32 v110, 0xbbf1, v106
	v_sub_f16_e32 v6, v6, v21
	v_add_f16_e32 v99, v101, v99
	v_add_f16_e32 v20, v22, v20
	;; [unrolled: 1-line block ×3, first 2 shown]
	v_fma_f16 v22, v40, 0x2fb7, -v110
	v_mul_f16_e32 v101, 0xbbf1, v6
	v_add_f16_e32 v23, v104, v23
	v_mul_f16_e32 v104, 0xb3a8, v6
	v_add_f16_e32 v21, v107, v105
	v_add_f16_e32 v22, v22, v86
	v_fmamk_f16 v73, v20, 0x2fb7, v101
	v_mul_f16_e32 v86, 0xb3a8, v106
	v_fma_f16 v101, v20, 0x2fb7, -v101
	v_mul_f16_e32 v107, 0x3b7b, v106
	v_add_f16_e32 v95, v112, v95
	v_add_f16_e32 v73, v73, v80
	v_fma_f16 v80, v40, 0xbbc4, -v86
	v_add_f16_e32 v45, v101, v45
	v_fmamk_f16 v101, v20, 0xbbc4, v104
	v_fmac_f16_e32 v86, 0xbbc4, v40
	v_add_f16_e32 v105, v109, v108
	v_add_f16_e32 v80, v80, v90
	v_fma_f16 v90, v20, 0xbbc4, -v104
	v_add_f16_e32 v98, v101, v98
	v_fma_f16 v101, v40, 0xb5ac, -v107
	v_mul_f16_e32 v104, 0x3b7b, v6
	v_add_f16_e32 v86, v86, v87
	v_add_f16_e32 v87, v90, v93
	v_mul_f16_e32 v90, 0x3770, v106
	v_add_f16_e32 v92, v101, v92
	v_fmamk_f16 v93, v20, 0xb5ac, v104
	v_fma_f16 v101, v20, 0xb5ac, -v104
	v_mul_f16_e32 v108, 0x3770, v6
	v_fma_f16 v104, v40, 0x3b15, -v90
	v_fmac_f16_e32 v90, 0x3b15, v40
	v_add_f16_e32 v93, v93, v102
	v_add_f16_e32 v89, v101, v89
	v_fmamk_f16 v101, v20, 0x3b15, v108
	v_add_f16_e32 v95, v104, v95
	v_mul_f16_e32 v102, 0xba95, v106
	v_mul_f16_e32 v104, 0xba95, v6
	v_add_f16_e32 v90, v90, v94
	v_add_f16_e32 v91, v101, v91
	v_fmac_f16_e32 v107, 0xb5ac, v40
	v_fma_f16 v94, v40, 0x388b, -v102
	v_fmamk_f16 v101, v20, 0x388b, v104
	v_fmac_f16_e32 v102, 0x388b, v40
	v_mul_f16_e32 v106, 0xb94e, v106
	v_mul_f16_e32 v6, 0xb94e, v6
	v_add_f16_e32 v94, v94, v97
	v_add_f16_e32 v97, v101, v100
	;; [unrolled: 1-line block ×3, first 2 shown]
	v_fma_f16 v101, v20, 0x388b, -v104
	v_sub_f16_e32 v102, v11, v18
	v_fmac_f16_e32 v110, 0x2fb7, v40
	v_add_f16_e32 v88, v107, v88
	v_fma_f16 v107, v20, 0x3b15, -v108
	v_fma_f16 v100, v40, 0xb9fd, -v106
	v_fmac_f16_e32 v106, 0xb9fd, v40
	v_fmamk_f16 v40, v20, 0xb9fd, v6
	v_fma_f16 v6, v20, 0xb9fd, -v6
	v_add_f16_e32 v20, v101, v21
	v_sub_f16_e32 v21, v5, v19
	v_add_f16_e32 v5, v5, v19
	v_mul_f16_e32 v19, 0xbb7b, v102
	v_add_f16_e32 v99, v100, v99
	v_add_f16_e32 v11, v11, v18
	v_mul_f16_e32 v18, 0xbb7b, v21
	v_add_f16_e32 v41, v110, v41
	v_fma_f16 v100, v5, 0xb5ac, -v19
	v_add_f16_e32 v6, v6, v7
	v_mul_f16_e32 v101, 0x394e, v102
	v_fmamk_f16 v7, v11, 0xb5ac, v18
	v_fmac_f16_e32 v19, 0xb5ac, v5
	v_add_f16_e32 v22, v100, v22
	v_mul_f16_e32 v100, 0x394e, v21
	v_fma_f16 v18, v11, 0xb5ac, -v18
	v_fma_f16 v104, v5, 0xb9fd, -v101
	v_add_f16_e32 v7, v7, v73
	v_add_f16_e32 v19, v19, v41
	v_fmamk_f16 v41, v11, 0xb9fd, v100
	v_mul_f16_e32 v73, 0x3770, v102
	v_fmac_f16_e32 v101, 0xb9fd, v5
	v_add_f16_e32 v18, v18, v45
	v_add_f16_e32 v45, v104, v80
	v_fma_f16 v80, v11, 0xb9fd, -v100
	v_mul_f16_e32 v100, 0x3770, v21
	v_add_f16_e32 v41, v41, v98
	v_fma_f16 v98, v5, 0x3b15, -v73
	v_add_f16_e32 v86, v101, v86
	v_mul_f16_e32 v101, 0xbbf1, v102
	v_add_f16_e32 v80, v80, v87
	v_fmamk_f16 v87, v11, 0x3b15, v100
	v_add_f16_e32 v92, v98, v92
	v_fmac_f16_e32 v73, 0x3b15, v5
	v_fma_f16 v98, v11, 0x3b15, -v100
	v_mul_f16_e32 v100, 0xbbf1, v21
	v_fma_f16 v104, v5, 0x2fb7, -v101
	v_add_f16_e32 v87, v87, v93
	v_add_f16_e32 v73, v73, v88
	v_add_f16_e32 v88, v98, v89
	v_fmamk_f16 v89, v11, 0x2fb7, v100
	v_add_f16_e32 v93, v104, v95
	v_mul_f16_e32 v95, 0x33a8, v102
	v_fmac_f16_e32 v101, 0x2fb7, v5
	v_mul_f16_e32 v98, 0x33a8, v21
	v_add_f16_e32 v89, v89, v91
	v_fma_f16 v91, v11, 0x2fb7, -v100
	v_fma_f16 v100, v5, 0xbbc4, -v95
	v_fmac_f16_e32 v95, 0xbbc4, v5
	v_mul_f16_e32 v102, 0x3a95, v102
	v_add_f16_e32 v90, v101, v90
	v_fmamk_f16 v101, v11, 0xbbc4, v98
	v_mul_f16_e32 v21, 0x3a95, v21
	v_add_f16_e32 v95, v95, v96
	v_fma_f16 v96, v5, 0x388b, -v102
	v_fmac_f16_e32 v102, 0x388b, v5
	v_fma_f16 v5, v11, 0xbbc4, -v98
	v_sub_f16_e32 v98, v17, v16
	v_add_f16_e32 v94, v100, v94
	v_fmamk_f16 v100, v11, 0x388b, v21
	v_fma_f16 v11, v11, 0x388b, -v21
	v_add_f16_e32 v21, v4, v10
	v_sub_f16_e32 v4, v4, v10
	v_mul_f16_e32 v10, 0xb94e, v98
	v_add_f16_e32 v5, v5, v20
	v_add_f16_e32 v20, v96, v99
	;; [unrolled: 1-line block ×3, first 2 shown]
	v_mul_f16_e32 v17, 0xb94e, v4
	v_fma_f16 v96, v21, 0xb9fd, -v10
	v_add_f16_e32 v6, v11, v6
	v_fmac_f16_e32 v10, 0xb9fd, v21
	v_add_f16_e32 v40, v40, v105
	v_fmamk_f16 v11, v16, 0xb9fd, v17
	v_add_f16_e32 v22, v96, v22
	v_mul_f16_e32 v96, 0x3bf1, v98
	v_fma_f16 v17, v16, 0xb9fd, -v17
	v_add_f16_e32 v10, v10, v19
	v_add_f16_e32 v7, v11, v7
	v_mul_f16_e32 v11, 0x3bf1, v4
	v_fma_f16 v99, v21, 0x2fb7, -v96
	v_add_f16_e32 v17, v17, v18
	v_mul_f16_e32 v18, 0xba95, v98
	v_fmac_f16_e32 v96, 0x2fb7, v21
	v_fmamk_f16 v19, v16, 0x2fb7, v11
	v_add_f16_e32 v45, v99, v45
	v_fma_f16 v11, v16, 0x2fb7, -v11
	v_fma_f16 v99, v21, 0x388b, -v18
	v_fmac_f16_e32 v18, 0x388b, v21
	v_add_f16_e32 v19, v19, v41
	v_mul_f16_e32 v41, 0xba95, v4
	v_add_f16_e32 v11, v11, v80
	v_add_f16_e32 v80, v99, v92
	v_mul_f16_e32 v92, 0x33a8, v98
	v_mul_f16_e32 v99, 0x33a8, v4
	v_add_f16_e32 v103, v107, v103
	v_add_f16_e32 v40, v100, v40
	;; [unrolled: 1-line block ×3, first 2 shown]
	v_fmamk_f16 v96, v16, 0x388b, v41
	v_fma_f16 v41, v16, 0x388b, -v41
	v_fma_f16 v100, v21, 0xbbc4, -v92
	v_add_f16_e32 v18, v18, v73
	v_fmamk_f16 v73, v16, 0xbbc4, v99
	v_add_f16_e32 v91, v91, v103
	v_add_f16_e32 v41, v41, v88
	v_add_f16_e32 v88, v100, v93
	v_fmac_f16_e32 v92, 0xbbc4, v21
	v_mul_f16_e32 v93, 0x3770, v98
	v_add_f16_e32 v73, v73, v89
	v_fma_f16 v89, v16, 0xbbc4, -v99
	v_add_f16_e32 v87, v96, v87
	v_mul_f16_e32 v96, 0x3770, v4
	v_add_f16_e32 v90, v92, v90
	v_fma_f16 v92, v21, 0x3b15, -v93
	v_fmac_f16_e32 v93, 0x3b15, v21
	v_add_f16_e32 v89, v89, v91
	v_mul_f16_e32 v91, 0xbb7b, v98
	v_add_f16_e32 v97, v101, v97
	v_fmamk_f16 v99, v16, 0x3b15, v96
	v_add_f16_e32 v93, v93, v95
	v_mul_f16_e32 v4, 0xbb7b, v4
	v_fma_f16 v95, v21, 0xb5ac, -v91
	v_fmac_f16_e32 v91, 0xb5ac, v21
	v_sub_f16_e32 v21, v15, v14
	v_add_f16_e32 v92, v92, v94
	v_add_f16_e32 v94, v99, v97
	v_fma_f16 v96, v16, 0x3b15, -v96
	v_fmamk_f16 v97, v16, 0xb5ac, v4
	v_fma_f16 v4, v16, 0xb5ac, -v4
	v_add_f16_e32 v16, v9, v8
	v_mul_f16_e32 v98, 0xb3a8, v21
	v_sub_f16_e32 v8, v9, v8
	v_add_f16_e32 v23, v106, v23
	v_add_f16_e32 v9, v95, v20
	;; [unrolled: 1-line block ×3, first 2 shown]
	v_fma_f16 v15, v16, 0xbbc4, -v98
	v_mul_f16_e32 v20, 0xb3a8, v8
	v_add_f16_e32 v23, v102, v23
	v_add_f16_e32 v4, v4, v6
	v_mul_f16_e32 v95, 0xb94e, v21
	v_add_f16_e32 v6, v15, v22
	v_fmamk_f16 v15, v14, 0xbbc4, v20
	v_mul_f16_e32 v22, 0x3770, v21
	v_add_f16_e32 v23, v91, v23
	v_fma_f16 v20, v14, 0xbbc4, -v20
	v_mul_f16_e32 v91, 0x3770, v8
	v_add_f16_e32 v7, v15, v7
	v_fma_f16 v15, v16, 0x3b15, -v22
	v_fmac_f16_e32 v22, 0x3b15, v16
	v_add_f16_e32 v17, v20, v17
	v_fmamk_f16 v20, v14, 0x3b15, v91
	v_add_f16_e32 v5, v96, v5
	v_add_f16_e32 v15, v15, v45
	v_fma_f16 v45, v14, 0x3b15, -v91
	v_mul_f16_e32 v91, 0xb94e, v8
	v_add_f16_e32 v19, v20, v19
	v_fma_f16 v20, v16, 0xb9fd, -v95
	v_add_f16_e32 v22, v22, v86
	v_add_f16_e32 v11, v45, v11
	v_mul_f16_e32 v45, 0x3a95, v21
	v_fma_f16 v86, v14, 0xb9fd, -v91
	v_add_f16_e32 v20, v20, v80
	v_fmamk_f16 v80, v14, 0xb9fd, v91
	v_mul_f16_e32 v96, 0x3a95, v8
	v_fma_f16 v91, v16, 0x388b, -v45
	v_add_f16_e32 v86, v86, v41
	v_fmac_f16_e32 v95, 0xb9fd, v16
	v_add_f16_e32 v80, v80, v87
	v_fmamk_f16 v87, v14, 0x388b, v96
	v_add_f16_e32 v41, v91, v88
	v_mul_f16_e32 v88, 0xbb7b, v21
	v_fmac_f16_e32 v45, 0x388b, v16
	v_mul_f16_e32 v91, 0xbb7b, v8
	v_add_f16_e32 v73, v87, v73
	v_mul_f16_e32 v21, 0x3bf1, v21
	v_fma_f16 v87, v16, 0xb5ac, -v88
	v_mul_f16_e32 v8, 0x3bf1, v8
	v_fmac_f16_e32 v98, 0xbbc4, v16
	v_add_f16_e32 v18, v95, v18
	v_fma_f16 v95, v14, 0x388b, -v96
	v_add_f16_e32 v45, v45, v90
	v_fmamk_f16 v90, v14, 0xb5ac, v91
	v_fmac_f16_e32 v88, 0xb5ac, v16
	v_add_f16_e32 v87, v87, v92
	v_fma_f16 v91, v14, 0xb5ac, -v91
	v_fma_f16 v92, v16, 0x2fb7, -v21
	v_fmac_f16_e32 v21, 0x2fb7, v16
	v_fmamk_f16 v16, v14, 0x2fb7, v8
	v_fma_f16 v8, v14, 0x2fb7, -v8
	v_pack_b32_f16 v14, v75, v77
	v_pack_b32_f16 v76, v76, v78
	v_add_f16_e32 v40, v97, v40
	v_lshrrev_b32_e32 v75, 1, v28
	v_add_f16_e32 v21, v21, v23
	v_pack_b32_f16 v23, v84, v85
	ds_store_2addr_b32 v13, v14, v76 offset0:8 offset1:10
	v_pack_b32_f16 v14, v82, v83
	v_add_f16_e32 v16, v16, v40
	v_pack_b32_f16 v40, v74, v81
	v_pack_b32_f16 v71, v71, v72
	;; [unrolled: 1-line block ×4, first 2 shown]
	v_add_f16_e32 v4, v8, v4
	v_mul_lo_u32 v8, v75, 26
	ds_store_2addr_b32 v13, v14, v23 offset0:12 offset1:14
	ds_store_2addr_b32 v13, v40, v71 offset0:16 offset1:18
	;; [unrolled: 1-line block ×3, first 2 shown]
	v_subrev_nc_u32_e32 v66, 26, v24
	v_pack_b32_f16 v0, v0, v1
	v_pack_b32_f16 v1, v68, v79
	v_add_f16_e32 v90, v90, v94
	v_add_f16_e32 v9, v92, v9
	s_wait_alu 0xf1ff
	v_cndmask_b32_e64 v68, v66, v24, s0
	v_or_b32_e32 v3, v8, v12
	v_pack_b32_f16 v8, v41, v73
	v_mov_b32_e32 v41, 0
	v_add_f16_e32 v89, v95, v89
	v_mul_i32_i24_e32 v40, 12, v68
	v_lshl_add_u32 v2, v3, 2, 0
	v_pack_b32_f16 v3, v6, v7
	v_add_f16_e32 v88, v88, v93
	v_add_f16_e32 v5, v91, v5
	v_pack_b32_f16 v6, v15, v19
	v_pack_b32_f16 v7, v20, v80
	;; [unrolled: 1-line block ×3, first 2 shown]
	v_add_f16_e32 v10, v98, v10
	ds_store_b32 v13, v0 offset:96
	ds_store_2addr_b32 v2, v1, v3 offset1:2
	ds_store_2addr_b32 v2, v6, v7 offset0:4 offset1:6
	v_lshlrev_b64_e32 v[0:1], 2, v[40:41]
	v_pack_b32_f16 v3, v9, v16
	v_pack_b32_f16 v4, v21, v4
	;; [unrolled: 1-line block ×4, first 2 shown]
	ds_store_2addr_b32 v2, v8, v12 offset0:8 offset1:10
	v_pack_b32_f16 v7, v18, v86
	v_pack_b32_f16 v8, v22, v11
	;; [unrolled: 1-line block ×3, first 2 shown]
	ds_store_2addr_b32 v2, v3, v4 offset0:12 offset1:14
	ds_store_2addr_b32 v2, v5, v6 offset0:16 offset1:18
	;; [unrolled: 1-line block ×3, first 2 shown]
	ds_store_b32 v2, v9 offset:96
	v_add_co_u32 v12, s1, s8, v0
	v_and_b32_e32 v4, 0xff, v28
	s_wait_alu 0xf1ff
	v_add_co_ci_u32_e64 v13, s1, s9, v1, s1
	global_wb scope:SCOPE_SE
	s_wait_dscnt 0x0
	s_barrier_signal -1
	v_mul_lo_u16 v4, 0x4f, v4
	s_barrier_wait -1
	global_inv scope:SCOPE_SE
	global_load_b128 v[0:3], v[12:13], off offset:96
	v_cmp_lt_u32_e64 s1, 25, v24
	v_lshrrev_b16 v69, 11, v4
	global_load_b128 v[4:7], v[12:13], off offset:112
	v_mul_lo_u16 v8, v69, 26
	s_delay_alu instid0(VALU_DEP_1) | instskip(NEXT) | instid1(VALU_DEP_1)
	v_sub_nc_u16 v8, v28, v8
	v_and_b32_e32 v40, 0xff, v8
	s_delay_alu instid0(VALU_DEP_1) | instskip(NEXT) | instid1(VALU_DEP_1)
	v_mul_u32_u24_e32 v8, 12, v40
	v_lshlrev_b32_e32 v14, 2, v8
	s_clause 0x3
	global_load_b128 v[8:11], v14, s[8:9] offset:128
	global_load_b128 v[16:19], v[12:13], off offset:128
	global_load_b128 v[20:23], v14, s[8:9] offset:112
	global_load_b128 v[12:15], v14, s[8:9] offset:96
	ds_load_b32 v75, v44
	ds_load_b32 v72, v42
	;; [unrolled: 1-line block ×3, first 2 shown]
	ds_load_2addr_b32 v[44:45], v53 offset0:164 offset1:216
	ds_load_b32 v80, v63
	ds_load_2addr_b32 v[42:43], v57 offset0:12 offset1:64
	ds_load_b32 v79, v64
	ds_load_b32 v78, v70
	ds_load_b32 v77, v46 offset:5200
	ds_load_b32 v85, v59
	ds_load_2addr_b32 v[82:83], v65 offset0:92 offset1:144
	ds_load_2addr_b32 v[86:87], v55 offset0:68 offset1:120
	s_wait_dscnt 0xb
	v_lshrrev_b32_e32 v76, 16, v75
	s_wait_dscnt 0xa
	v_lshrrev_b32_e32 v74, 16, v72
	;; [unrolled: 2-line block ×7, first 2 shown]
	s_wait_loadcnt 0x5
	v_lshrrev_b32_e32 v81, 16, v0
	v_lshrrev_b32_e32 v89, 16, v1
	;; [unrolled: 1-line block ×3, first 2 shown]
	s_delay_alu instid0(VALU_DEP_3)
	v_mul_f16_e32 v93, v81, v80
	v_mul_f16_e32 v90, v81, v84
	s_wait_dscnt 0x4
	v_lshrrev_b32_e32 v81, 16, v78
	v_mul_f16_e32 v94, v89, v79
	v_mul_f16_e32 v95, v92, v78
	v_fmac_f16_e32 v93, v0, v84
	v_lshrrev_b32_e32 v84, 16, v3
	v_fma_f16 v80, v0, v80, -v90
	v_mul_f16_e32 v90, v89, v91
	v_mul_f16_e32 v0, v92, v81
	v_fmac_f16_e32 v94, v1, v91
	v_mul_f16_e32 v89, v76, v84
	v_mul_f16_e32 v84, v75, v84
	v_fma_f16 v79, v1, v79, -v90
	v_fma_f16 v78, v2, v78, -v0
	ds_load_2addr_b32 v[0:1], v55 offset0:172 offset1:224
	v_fmac_f16_e32 v95, v2, v81
	s_wait_loadcnt 0x4
	v_lshrrev_b32_e32 v2, 16, v4
	v_fma_f16 v75, v75, v3, -v89
	v_fmac_f16_e32 v84, v76, v3
	v_lshrrev_b32_e32 v3, 16, v5
	v_lshrrev_b32_e32 v90, 16, v6
	v_mul_f16_e32 v76, v74, v2
	v_mul_f16_e32 v96, v72, v2
	s_wait_dscnt 0x2
	v_lshrrev_b32_e32 v81, 16, v82
	v_mul_f16_e32 v2, v73, v3
	v_mul_f16_e32 v97, v71, v3
	v_lshrrev_b32_e32 v3, 16, v7
	v_fma_f16 v76, v72, v4, -v76
	v_fmac_f16_e32 v96, v74, v4
	v_mul_f16_e32 v74, v45, v90
	v_fma_f16 v98, v71, v5, -v2
	v_mul_f16_e32 v2, v70, v90
	v_mul_f16_e32 v99, v43, v3
	;; [unrolled: 1-line block ×3, first 2 shown]
	s_wait_loadcnt 0x3
	v_lshrrev_b32_e32 v4, 16, v8
	v_fmac_f16_e32 v74, v70, v6
	v_fma_f16 v100, v45, v6, -v2
	v_fmac_f16_e32 v99, v88, v7
	v_fma_f16 v101, v43, v7, -v3
	v_mul_f16_e32 v43, v82, v4
	v_lshrrev_b32_e32 v3, 16, v10
	v_lshrrev_b32_e32 v6, 16, v77
	;; [unrolled: 1-line block ×3, first 2 shown]
	s_wait_dscnt 0x1
	v_lshrrev_b32_e32 v89, 16, v86
	v_fmac_f16_e32 v97, v73, v5
	v_lshrrev_b32_e32 v2, 16, v9
	s_wait_dscnt 0x0
	v_lshrrev_b32_e32 v5, 16, v0
	v_mul_f16_e32 v4, v81, v4
	v_fmac_f16_e32 v43, v81, v8
	v_mul_f16_e32 v88, v0, v3
	v_mul_f16_e32 v45, v6, v7
	ds_load_2addr_b32 v[72:73], v57 offset0:116 offset1:168
	v_mul_f16_e32 v81, v77, v7
	v_mul_f16_e32 v70, v86, v2
	;; [unrolled: 1-line block ×4, first 2 shown]
	v_fmac_f16_e32 v88, v5, v10
	v_fma_f16 v90, v77, v11, -v45
	v_fma_f16 v45, v82, v8, -v4
	v_lshrrev_b32_e32 v4, 16, v83
	s_wait_loadcnt 0x2
	v_lshrrev_b32_e32 v5, 16, v17
	v_fmac_f16_e32 v81, v6, v11
	v_lshrrev_b32_e32 v6, 16, v1
	v_lshrrev_b32_e32 v7, 16, v19
	v_fmac_f16_e32 v70, v89, v9
	v_fma_f16 v71, v86, v9, -v2
	v_fma_f16 v89, v0, v10, -v3
	v_lshrrev_b32_e32 v2, 16, v87
	v_lshrrev_b32_e32 v0, 16, v18
	v_mul_f16_e32 v3, v4, v5
	v_mul_f16_e32 v82, v83, v5
	;; [unrolled: 1-line block ×5, first 2 shown]
	v_fma_f16 v77, v83, v17, -v3
	v_lshrrev_b32_e32 v3, 16, v16
	v_mul_f16_e32 v86, v87, v0
	v_fma_f16 v102, v1, v19, -v5
	ds_load_2addr_b32 v[0:1], v67 offset0:84 offset1:188
	v_fma_f16 v83, v87, v18, -v8
	s_wait_dscnt 0x1
	v_lshrrev_b32_e32 v8, 16, v73
	v_mul_f16_e32 v87, v73, v3
	v_fmac_f16_e32 v86, v2, v18
	ds_load_2addr_b32 v[10:11], v56 offset0:4 offset1:108
	v_lshrrev_b32_e32 v18, 16, v72
	s_wait_loadcnt 0x1
	v_lshrrev_b32_e32 v7, 16, v23
	v_mul_f16_e32 v3, v8, v3
	v_fmac_f16_e32 v87, v8, v16
	v_fmac_f16_e32 v82, v4, v17
	v_lshrrev_b32_e32 v9, 16, v44
	v_lshrrev_b32_e32 v2, 16, v21
	;; [unrolled: 1-line block ×4, first 2 shown]
	v_mul_f16_e32 v8, v18, v7
	v_fmac_f16_e32 v103, v6, v19
	v_mul_f16_e32 v4, v9, v2
	v_fma_f16 v16, v73, v16, -v3
	v_mul_f16_e32 v6, v17, v5
	v_lshrrev_b32_e32 v19, 16, v20
	v_fma_f16 v8, v72, v23, -v8
	v_mul_f16_e32 v7, v72, v7
	ds_load_2addr_b32 v[72:73], v46 offset1:156
	v_fma_f16 v3, v44, v21, -v4
	v_mul_f16_e32 v2, v44, v2
	v_fma_f16 v4, v42, v22, -v6
	s_wait_dscnt 0x2
	v_lshrrev_b32_e32 v44, 16, v1
	v_mul_f16_e32 v5, v42, v5
	v_mul_f16_e32 v6, v1, v19
	v_fmac_f16_e32 v2, v9, v21
	s_wait_loadcnt 0x0
	v_lshrrev_b32_e32 v21, 16, v13
	v_mul_f16_e32 v19, v44, v19
	v_fmac_f16_e32 v5, v17, v22
	v_fmac_f16_e32 v6, v44, v20
	s_wait_dscnt 0x1
	v_lshrrev_b32_e32 v44, 16, v10
	v_lshrrev_b32_e32 v67, 16, v11
	;; [unrolled: 1-line block ×3, first 2 shown]
	v_fmac_f16_e32 v7, v18, v23
	v_fma_f16 v9, v1, v20, -v19
	v_mul_f16_e32 v18, v44, v21
	v_lshrrev_b32_e32 v19, 16, v15
	v_mul_f16_e32 v20, v67, v17
	v_mul_f16_e32 v23, v10, v21
	v_lshrrev_b32_e32 v1, 16, v0
	v_fma_f16 v42, v10, v13, -v18
	v_lshrrev_b32_e32 v10, 16, v12
	v_fma_f16 v22, v11, v14, -v20
	v_mul_f16_e32 v21, v11, v17
	s_wait_dscnt 0x0
	v_lshrrev_b32_e32 v11, 16, v73
	v_mul_f16_e32 v17, v0, v19
	v_fmac_f16_e32 v23, v44, v13
	v_lshrrev_b32_e32 v13, 16, v72
	v_mul_f16_e32 v18, v1, v19
	v_mul_f16_e32 v92, v73, v10
	;; [unrolled: 1-line block ×3, first 2 shown]
	v_fmac_f16_e32 v21, v67, v14
	v_fmac_f16_e32 v17, v1, v15
	v_add_f16_e32 v1, v80, v72
	v_add_f16_e32 v14, v93, v13
	v_fmac_f16_e32 v92, v11, v12
	v_fma_f16 v91, v73, v12, -v10
	v_fma_f16 v18, v0, v15, -v18
	v_add_f16_e32 v1, v1, v79
	v_add_f16_e32 v12, v14, v94
	v_sub_f16_e32 v0, v93, v103
	v_add_f16_e32 v11, v80, v102
	v_sub_f16_e32 v80, v80, v102
	v_add_f16_e32 v1, v1, v78
	v_add_f16_e32 v12, v12, v95
	v_mul_f16_e32 v19, 0xb770, v0
	v_mul_f16_e32 v15, 0xba95, v0
	;; [unrolled: 1-line block ×3, first 2 shown]
	v_add_f16_e32 v1, v1, v75
	v_add_f16_e32 v12, v12, v84
	v_mul_f16_e32 v44, 0xbb7b, v0
	v_mul_f16_e32 v73, 0xb94e, v0
	;; [unrolled: 1-line block ×3, first 2 shown]
	v_add_f16_e32 v1, v1, v76
	v_add_f16_e32 v12, v12, v96
	v_fma_f16 v10, v11, 0x3b15, -v19
	v_fmac_f16_e32 v19, 0x3b15, v11
	v_fma_f16 v20, v11, 0x388b, -v15
	v_add_f16_e32 v1, v1, v98
	v_add_f16_e32 v12, v12, v97
	v_fmac_f16_e32 v15, 0x388b, v11
	v_fma_f16 v67, v11, 0x2fb7, -v14
	v_fmac_f16_e32 v14, 0x2fb7, v11
	v_fma_f16 v104, v11, 0xb5ac, -v44
	;; [unrolled: 2-line block ×4, first 2 shown]
	v_fmac_f16_e32 v0, 0xbbc4, v11
	v_add_f16_e32 v1, v1, v100
	v_add_f16_e32 v11, v12, v74
	v_add_f16_e32 v10, v10, v72
	v_add_f16_e32 v12, v19, v72
	v_add_f16_e32 v19, v20, v72
	v_add_f16_e32 v1, v1, v101
	v_add_f16_e32 v11, v11, v99
	v_add_f16_e32 v15, v15, v72
	v_add_f16_e32 v20, v67, v72
	v_add_f16_e32 v14, v14, v72
	v_add_f16_e32 v1, v1, v16
	v_add_f16_e32 v11, v11, v87
	v_add_f16_e32 v67, v104, v72
	v_add_f16_e32 v44, v44, v72
	v_add_f16_e32 v104, v105, v72
	v_add_f16_e32 v1, v1, v77
	v_add_f16_e32 v11, v11, v82
	v_add_f16_e32 v73, v73, v72
	v_add_f16_e32 v105, v106, v72
	v_add_f16_e32 v93, v93, v103
	v_add_f16_e32 v1, v1, v83
	v_add_f16_e32 v11, v11, v86
	v_mul_f16_e32 v106, 0xb770, v80
	v_add_f16_e32 v72, v0, v72
	v_mul_f16_e32 v108, 0xbb7b, v80
	v_add_f16_e32 v0, v1, v102
	;; [unrolled: 2-line block ×3, first 2 shown]
	v_mul_f16_e32 v103, 0xbbf1, v80
	v_fmamk_f16 v11, v93, 0x3b15, v106
	v_fma_f16 v106, v93, 0x3b15, -v106
	v_fmamk_f16 v107, v93, 0x388b, v102
	v_mul_f16_e32 v110, 0xb94e, v80
	v_fmamk_f16 v109, v93, 0x2fb7, v103
	v_mul_f16_e32 v80, 0xb3a8, v80
	v_fma_f16 v102, v93, 0x388b, -v102
	v_fma_f16 v103, v93, 0x2fb7, -v103
	v_fmamk_f16 v111, v93, 0xb5ac, v108
	v_fma_f16 v108, v93, 0xb5ac, -v108
	v_fmamk_f16 v112, v93, 0xb9fd, v110
	v_fma_f16 v110, v93, 0xb9fd, -v110
	v_fmamk_f16 v113, v93, 0xbbc4, v80
	v_fma_f16 v80, v93, 0xbbc4, -v80
	v_add_f16_e32 v93, v106, v13
	v_add_f16_e32 v106, v107, v13
	;; [unrolled: 1-line block ×3, first 2 shown]
	v_sub_f16_e32 v109, v94, v86
	v_add_f16_e32 v114, v79, v83
	v_sub_f16_e32 v79, v79, v83
	v_add_f16_e32 v86, v94, v86
	v_add_f16_e32 v11, v11, v13
	v_mul_f16_e32 v83, 0xba95, v109
	v_add_f16_e32 v102, v102, v13
	v_mul_f16_e32 v94, 0xba95, v79
	v_add_f16_e32 v103, v103, v13
	v_add_f16_e32 v111, v111, v13
	;; [unrolled: 1-line block ×4, first 2 shown]
	v_fma_f16 v115, v114, 0x388b, -v83
	v_add_f16_e32 v110, v110, v13
	v_add_f16_e32 v113, v113, v13
	;; [unrolled: 1-line block ×3, first 2 shown]
	v_fmamk_f16 v80, v86, 0x388b, v94
	v_add_f16_e32 v10, v115, v10
	v_mul_f16_e32 v115, 0xbb7b, v109
	v_fmac_f16_e32 v83, 0x388b, v114
	v_fma_f16 v94, v86, 0x388b, -v94
	v_add_f16_e32 v11, v80, v11
	v_mul_f16_e32 v80, 0xbb7b, v79
	v_fma_f16 v116, v114, 0xb5ac, -v115
	v_add_f16_e32 v12, v83, v12
	v_add_f16_e32 v83, v94, v93
	v_mul_f16_e32 v93, 0xb3a8, v109
	v_fmamk_f16 v94, v86, 0xb5ac, v80
	v_add_f16_e32 v19, v116, v19
	v_fmac_f16_e32 v115, 0xb5ac, v114
	v_fma_f16 v80, v86, 0xb5ac, -v80
	v_fma_f16 v116, v114, 0xbbc4, -v93
	v_add_f16_e32 v94, v94, v106
	v_mul_f16_e32 v106, 0xb3a8, v79
	v_add_f16_e32 v15, v115, v15
	v_add_f16_e32 v80, v80, v102
	;; [unrolled: 1-line block ×3, first 2 shown]
	v_mul_f16_e32 v102, 0x394e, v109
	v_fmamk_f16 v115, v86, 0xbbc4, v106
	v_fmac_f16_e32 v93, 0xbbc4, v114
	v_fma_f16 v106, v86, 0xbbc4, -v106
	v_mul_f16_e32 v116, 0x394e, v79
	v_fma_f16 v117, v114, 0xb9fd, -v102
	v_add_f16_e32 v107, v115, v107
	v_add_f16_e32 v14, v93, v14
	;; [unrolled: 1-line block ×3, first 2 shown]
	v_fmamk_f16 v103, v86, 0xb9fd, v116
	v_fmac_f16_e32 v102, 0xb9fd, v114
	v_mul_f16_e32 v106, 0x3bf1, v109
	v_mul_f16_e32 v115, 0x3bf1, v79
	;; [unrolled: 1-line block ×3, first 2 shown]
	v_add_f16_e32 v103, v103, v111
	v_fma_f16 v111, v86, 0xb9fd, -v116
	v_add_f16_e32 v44, v102, v44
	v_fma_f16 v102, v114, 0x2fb7, -v106
	v_fmamk_f16 v116, v86, 0x2fb7, v115
	v_fmac_f16_e32 v106, 0x2fb7, v114
	v_mul_f16_e32 v79, 0x3770, v79
	v_add_f16_e32 v108, v111, v108
	v_add_f16_e32 v102, v102, v104
	v_add_f16_e32 v104, v116, v112
	v_add_f16_e32 v73, v106, v73
	v_fma_f16 v106, v114, 0x3b15, -v109
	v_fmac_f16_e32 v109, 0x3b15, v114
	v_fma_f16 v111, v86, 0x2fb7, -v115
	v_sub_f16_e32 v112, v95, v82
	v_fmamk_f16 v114, v86, 0x3b15, v79
	v_fma_f16 v79, v86, 0x3b15, -v79
	v_add_f16_e32 v86, v78, v77
	v_sub_f16_e32 v77, v78, v77
	v_mul_f16_e32 v78, 0xbbf1, v112
	v_add_f16_e32 v82, v95, v82
	v_add_f16_e32 v105, v106, v105
	;; [unrolled: 1-line block ×3, first 2 shown]
	v_mul_f16_e32 v95, 0xbbf1, v77
	v_fma_f16 v106, v86, 0x2fb7, -v78
	v_fmac_f16_e32 v78, 0x2fb7, v86
	v_add_f16_e32 v72, v109, v72
	v_add_f16_e32 v110, v111, v110
	v_fmamk_f16 v79, v82, 0x2fb7, v95
	v_add_f16_e32 v10, v106, v10
	v_mul_f16_e32 v106, 0xb3a8, v112
	v_fma_f16 v95, v82, 0x2fb7, -v95
	v_add_f16_e32 v12, v78, v12
	v_add_f16_e32 v11, v79, v11
	v_mul_f16_e32 v79, 0xb3a8, v77
	v_fma_f16 v109, v86, 0xbbc4, -v106
	v_add_f16_e32 v78, v95, v83
	v_mul_f16_e32 v83, 0x3b7b, v112
	v_fmac_f16_e32 v106, 0xbbc4, v86
	v_fmamk_f16 v95, v82, 0xbbc4, v79
	v_add_f16_e32 v19, v109, v19
	v_fma_f16 v79, v82, 0xbbc4, -v79
	v_fma_f16 v109, v86, 0xb5ac, -v83
	v_add_f16_e32 v15, v106, v15
	v_add_f16_e32 v94, v95, v94
	v_mul_f16_e32 v95, 0x3b7b, v77
	v_fmac_f16_e32 v83, 0xb5ac, v86
	v_add_f16_e32 v20, v109, v20
	v_mul_f16_e32 v109, 0x3770, v77
	v_add_f16_e32 v79, v79, v80
	v_fmamk_f16 v106, v82, 0xb5ac, v95
	v_fma_f16 v95, v82, 0xb5ac, -v95
	v_mul_f16_e32 v80, 0x3770, v112
	v_add_f16_e32 v14, v83, v14
	v_add_f16_e32 v111, v114, v113
	;; [unrolled: 1-line block ×4, first 2 shown]
	v_fmamk_f16 v93, v82, 0x3b15, v109
	v_fma_f16 v113, v86, 0x3b15, -v80
	v_fmac_f16_e32 v80, 0x3b15, v86
	v_mul_f16_e32 v95, 0xba95, v112
	v_mul_f16_e32 v107, 0xba95, v77
	v_add_f16_e32 v93, v93, v103
	v_fma_f16 v103, v82, 0x3b15, -v109
	v_add_f16_e32 v44, v80, v44
	v_fma_f16 v80, v86, 0x388b, -v95
	v_fmamk_f16 v109, v82, 0x388b, v107
	v_fmac_f16_e32 v95, 0x388b, v86
	v_add_f16_e32 v103, v103, v108
	v_mul_f16_e32 v108, 0xb94e, v112
	v_mul_f16_e32 v77, 0xb94e, v77
	v_add_f16_e32 v80, v80, v102
	v_add_f16_e32 v102, v109, v104
	v_add_f16_e32 v73, v95, v73
	v_fma_f16 v95, v86, 0xb9fd, -v108
	v_fmac_f16_e32 v108, 0xb9fd, v86
	v_fma_f16 v86, v82, 0x388b, -v107
	v_sub_f16_e32 v104, v84, v87
	v_fmamk_f16 v107, v82, 0xb9fd, v77
	v_fma_f16 v77, v82, 0xb9fd, -v77
	v_add_f16_e32 v82, v75, v16
	v_sub_f16_e32 v16, v75, v16
	v_mul_f16_e32 v75, 0xbb7b, v104
	v_add_f16_e32 v84, v84, v87
	v_add_f16_e32 v95, v95, v105
	;; [unrolled: 1-line block ×3, first 2 shown]
	v_mul_f16_e32 v87, 0xbb7b, v16
	v_fma_f16 v105, v82, 0xb5ac, -v75
	v_fmac_f16_e32 v75, 0xb5ac, v82
	v_add_f16_e32 v72, v108, v72
	v_add_f16_e32 v86, v86, v110
	v_fmamk_f16 v77, v84, 0xb5ac, v87
	v_add_f16_e32 v10, v105, v10
	v_mul_f16_e32 v105, 0x394e, v104
	v_fma_f16 v87, v84, 0xb5ac, -v87
	v_add_f16_e32 v12, v75, v12
	v_add_f16_e32 v11, v77, v11
	v_mul_f16_e32 v77, 0x394e, v16
	v_fma_f16 v108, v82, 0xb9fd, -v105
	v_add_f16_e32 v75, v87, v78
	v_mul_f16_e32 v78, 0x3770, v104
	v_fmac_f16_e32 v105, 0xb9fd, v82
	v_fmamk_f16 v87, v84, 0xb9fd, v77
	v_add_f16_e32 v19, v108, v19
	v_fma_f16 v77, v84, 0xb9fd, -v77
	v_fma_f16 v108, v82, 0x3b15, -v78
	v_add_f16_e32 v15, v105, v15
	v_add_f16_e32 v87, v87, v94
	v_mul_f16_e32 v94, 0x3770, v16
	v_fmac_f16_e32 v78, 0x3b15, v82
	v_add_f16_e32 v20, v108, v20
	v_mul_f16_e32 v108, 0xbbf1, v16
	v_add_f16_e32 v77, v77, v79
	v_fmamk_f16 v105, v84, 0x3b15, v94
	v_fma_f16 v94, v84, 0x3b15, -v94
	v_mul_f16_e32 v79, 0xbbf1, v104
	v_add_f16_e32 v14, v78, v14
	v_add_f16_e32 v67, v117, v67
	;; [unrolled: 1-line block ×4, first 2 shown]
	v_fmamk_f16 v83, v84, 0x2fb7, v108
	v_fma_f16 v109, v82, 0x2fb7, -v79
	v_fmac_f16_e32 v79, 0x2fb7, v82
	v_mul_f16_e32 v94, 0x33a8, v104
	v_mul_f16_e32 v106, 0x33a8, v16
	v_add_f16_e32 v83, v83, v93
	v_fma_f16 v93, v84, 0x2fb7, -v108
	v_add_f16_e32 v44, v79, v44
	v_fma_f16 v79, v82, 0xbbc4, -v94
	v_fmac_f16_e32 v94, 0xbbc4, v82
	v_fmamk_f16 v108, v84, 0xbbc4, v106
	v_add_f16_e32 v93, v93, v103
	v_mul_f16_e32 v103, 0x3a95, v104
	v_mul_f16_e32 v16, 0x3a95, v16
	v_add_f16_e32 v73, v94, v73
	v_add_f16_e32 v79, v79, v80
	v_add_f16_e32 v80, v108, v102
	v_fma_f16 v94, v82, 0x388b, -v103
	v_fmac_f16_e32 v103, 0x388b, v82
	v_sub_f16_e32 v82, v96, v99
	v_fma_f16 v102, v84, 0xbbc4, -v106
	v_fmamk_f16 v104, v84, 0x388b, v16
	v_fma_f16 v16, v84, 0x388b, -v16
	v_add_f16_e32 v84, v76, v101
	v_mul_f16_e32 v106, 0xb94e, v82
	v_sub_f16_e32 v76, v76, v101
	v_add_f16_e32 v94, v94, v95
	v_add_f16_e32 v95, v96, v99
	;; [unrolled: 1-line block ×3, first 2 shown]
	v_fma_f16 v96, v84, 0xb9fd, -v106
	v_mul_f16_e32 v99, 0xb94e, v76
	v_add_f16_e32 v86, v102, v86
	v_mul_f16_e32 v102, 0x3bf1, v76
	v_add_f16_e32 v107, v107, v111
	v_add_f16_e32 v10, v96, v10
	v_fmamk_f16 v16, v95, 0xb9fd, v99
	v_mul_f16_e32 v96, 0x3bf1, v82
	v_fma_f16 v99, v95, 0xb9fd, -v99
	v_add_f16_e32 v72, v103, v72
	v_mul_f16_e32 v103, 0xba95, v82
	v_add_f16_e32 v11, v16, v11
	v_fma_f16 v16, v84, 0x2fb7, -v96
	v_add_f16_e32 v75, v99, v75
	v_fmamk_f16 v99, v95, 0x2fb7, v102
	v_fmac_f16_e32 v96, 0x2fb7, v84
	v_add_f16_e32 v67, v113, v67
	v_add_f16_e32 v16, v16, v19
	v_fma_f16 v19, v95, 0x2fb7, -v102
	v_mul_f16_e32 v102, 0xba95, v76
	v_add_f16_e32 v101, v104, v107
	v_add_f16_e32 v87, v99, v87
	v_fma_f16 v99, v84, 0x388b, -v103
	v_add_f16_e32 v96, v96, v15
	v_add_f16_e32 v77, v19, v77
	v_mul_f16_e32 v15, 0x33a8, v82
	v_fmamk_f16 v19, v95, 0x388b, v102
	v_fmac_f16_e32 v103, 0x388b, v84
	v_mul_f16_e32 v104, 0x33a8, v76
	v_add_f16_e32 v67, v109, v67
	v_add_f16_e32 v20, v99, v20
	v_fma_f16 v99, v95, 0x388b, -v102
	v_fma_f16 v102, v84, 0xbbc4, -v15
	v_add_f16_e32 v105, v19, v105
	v_add_f16_e32 v103, v103, v14
	v_fmamk_f16 v14, v95, 0xbbc4, v104
	v_mul_f16_e32 v19, 0x3770, v82
	v_add_f16_e32 v78, v99, v78
	v_add_f16_e32 v99, v102, v67
	v_fmac_f16_e32 v15, 0xbbc4, v84
	v_mul_f16_e32 v67, 0x3770, v76
	v_add_f16_e32 v83, v14, v83
	v_fma_f16 v14, v84, 0x3b15, -v19
	v_fma_f16 v102, v95, 0xbbc4, -v104
	v_add_f16_e32 v104, v15, v44
	v_fmamk_f16 v15, v95, 0x3b15, v67
	v_fmac_f16_e32 v19, 0x3b15, v84
	v_mul_f16_e32 v44, 0xbb7b, v82
	v_add_f16_e32 v79, v14, v79
	v_mul_f16_e32 v14, 0xbb7b, v76
	v_fmac_f16_e32 v106, 0xb9fd, v84
	v_add_f16_e32 v82, v15, v80
	v_add_f16_e32 v76, v19, v73
	v_fma_f16 v15, v84, 0xb5ac, -v44
	v_fma_f16 v19, v95, 0x3b15, -v67
	v_fmac_f16_e32 v44, 0xb5ac, v84
	v_fmamk_f16 v67, v95, 0xb5ac, v14
	v_sub_f16_e32 v84, v97, v74
	v_fma_f16 v14, v95, 0xb5ac, -v14
	v_add_f16_e32 v95, v98, v100
	v_sub_f16_e32 v98, v98, v100
	v_add_f16_e32 v86, v19, v86
	v_mul_f16_e32 v19, 0xb3a8, v84
	v_add_f16_e32 v94, v15, v94
	v_add_f16_e32 v97, v97, v74
	v_mul_f16_e32 v15, 0xb3a8, v98
	v_add_f16_e32 v100, v67, v101
	v_fma_f16 v67, v95, 0xbbc4, -v19
	v_add_f16_e32 v101, v44, v72
	v_add_f16_e32 v12, v106, v12
	v_fmamk_f16 v44, v97, 0xbbc4, v15
	v_add_f16_e32 v93, v102, v93
	v_add_f16_e32 v102, v14, v13
	v_mul_f16_e32 v13, 0x3770, v84
	v_add_f16_e32 v14, v67, v10
	v_fmac_f16_e32 v19, 0xbbc4, v95
	v_fma_f16 v67, v97, 0xbbc4, -v15
	v_add_f16_e32 v15, v44, v11
	v_mul_f16_e32 v44, 0x3770, v98
	v_fma_f16 v72, v95, 0x3b15, -v13
	v_add_f16_e32 v10, v19, v12
	v_fmac_f16_e32 v13, 0x3b15, v95
	v_add_f16_e32 v11, v67, v75
	v_fmamk_f16 v12, v97, 0x3b15, v44
	v_add_f16_e32 v16, v72, v16
	v_fma_f16 v44, v97, 0x3b15, -v44
	v_mul_f16_e32 v72, 0xb94e, v98
	v_mul_f16_e32 v67, 0xb94e, v84
	v_add_f16_e32 v19, v12, v87
	v_add_f16_e32 v12, v13, v96
	v_lshrrev_b32_e32 v96, 16, v85
	v_add_f16_e32 v13, v44, v77
	v_fmamk_f16 v44, v97, 0xb9fd, v72
	v_fma_f16 v72, v97, 0xb9fd, -v72
	v_add_f16_e32 v77, v91, v85
	v_add_f16_e32 v74, v92, v96
	v_fma_f16 v73, v95, 0xb9fd, -v67
	v_mul_f16_e32 v80, 0x3a95, v98
	v_add_f16_e32 v72, v72, v78
	v_add_f16_e32 v78, v77, v42
	;; [unrolled: 1-line block ×4, first 2 shown]
	v_mul_f16_e32 v73, 0x3a95, v84
	v_fmamk_f16 v87, v97, 0x388b, v80
	v_add_f16_e32 v78, v78, v22
	v_add_f16_e32 v74, v74, v21
	v_fmac_f16_e32 v67, 0xb9fd, v95
	v_fma_f16 v75, v95, 0x388b, -v73
	v_add_f16_e32 v77, v87, v83
	v_add_f16_e32 v78, v78, v18
	;; [unrolled: 1-line block ×3, first 2 shown]
	v_mul_f16_e32 v83, 0xbb7b, v84
	v_add_f16_e32 v67, v67, v103
	v_add_f16_e32 v75, v75, v99
	;; [unrolled: 1-line block ×4, first 2 shown]
	v_fma_f16 v80, v97, 0x388b, -v80
	v_fma_f16 v99, v95, 0xb5ac, -v83
	v_mul_f16_e32 v103, 0xbb7b, v98
	v_add_f16_e32 v78, v78, v3
	v_add_f16_e32 v87, v87, v2
	;; [unrolled: 1-line block ×4, first 2 shown]
	v_fmamk_f16 v79, v97, 0xb5ac, v103
	v_add_f16_e32 v78, v78, v4
	v_add_f16_e32 v87, v87, v5
	v_fmac_f16_e32 v83, 0xb5ac, v95
	v_mul_f16_e32 v93, 0x3bf1, v84
	v_add_f16_e32 v82, v79, v82
	v_add_f16_e32 v78, v78, v8
	;; [unrolled: 1-line block ×4, first 2 shown]
	v_fma_f16 v83, v95, 0x2fb7, -v93
	v_mul_f16_e32 v84, 0x3bf1, v98
	v_add_f16_e32 v98, v78, v45
	v_add_f16_e32 v79, v79, v43
	v_fmac_f16_e32 v93, 0x2fb7, v95
	v_fma_f16 v87, v97, 0xb5ac, -v103
	v_add_f16_e32 v83, v83, v94
	v_add_f16_e32 v94, v98, v71
	;; [unrolled: 1-line block ×3, first 2 shown]
	v_fmac_f16_e32 v73, 0x388b, v95
	v_fmamk_f16 v95, v97, 0x2fb7, v84
	v_fma_f16 v97, v97, 0x2fb7, -v84
	v_add_f16_e32 v78, v87, v86
	v_add_f16_e32 v79, v79, v88
	v_add_f16_e32 v86, v93, v101
	v_sub_f16_e32 v93, v92, v81
	v_add_f16_e32 v94, v94, v89
	v_add_f16_e32 v84, v95, v100
	;; [unrolled: 1-line block ×6, first 2 shown]
	v_mul_f16_e32 v97, 0xb770, v93
	v_add_f16_e32 v81, v94, v90
	v_mul_f16_e32 v94, 0xba95, v93
	v_sub_f16_e32 v90, v91, v90
	v_mul_f16_e32 v91, 0xbbf1, v93
	v_mul_f16_e32 v100, 0xbb7b, v93
	;; [unrolled: 1-line block ×3, first 2 shown]
	v_add_f16_e32 v73, v73, v104
	v_fma_f16 v98, v95, 0x3b15, -v97
	v_fma_f16 v99, v95, 0x388b, -v94
	;; [unrolled: 1-line block ×3, first 2 shown]
	v_mul_f16_e32 v93, 0xb3a8, v93
	v_fma_f16 v103, v95, 0xb5ac, -v100
	v_fma_f16 v104, v95, 0xb9fd, -v102
	v_add_f16_e32 v44, v44, v105
	v_fmac_f16_e32 v97, 0x3b15, v95
	v_fmac_f16_e32 v94, 0x388b, v95
	;; [unrolled: 1-line block ×5, first 2 shown]
	v_fma_f16 v105, v95, 0xbbc4, -v93
	v_fmac_f16_e32 v93, 0xbbc4, v95
	v_add_f16_e32 v95, v98, v85
	v_add_f16_e32 v98, v99, v85
	;; [unrolled: 1-line block ×5, first 2 shown]
	v_mul_f16_e32 v104, 0xb770, v90
	v_mul_f16_e32 v106, 0xba95, v90
	;; [unrolled: 1-line block ×3, first 2 shown]
	v_add_f16_e32 v97, v97, v85
	v_add_f16_e32 v94, v94, v85
	;; [unrolled: 1-line block ×7, first 2 shown]
	v_fmamk_f16 v93, v92, 0x3b15, v104
	v_fma_f16 v104, v92, 0x3b15, -v104
	v_fmamk_f16 v108, v92, 0x388b, v106
	v_mul_f16_e32 v109, 0xbb7b, v90
	v_fmamk_f16 v110, v92, 0x2fb7, v107
	v_mul_f16_e32 v111, 0xb94e, v90
	v_mul_f16_e32 v90, 0xb3a8, v90
	v_fma_f16 v106, v92, 0x388b, -v106
	v_fma_f16 v107, v92, 0x2fb7, -v107
	v_fmamk_f16 v112, v92, 0xb5ac, v109
	v_fma_f16 v109, v92, 0xb5ac, -v109
	v_fmamk_f16 v113, v92, 0xb9fd, v111
	;; [unrolled: 2-line block ×3, first 2 shown]
	v_fma_f16 v90, v92, 0xbbc4, -v90
	v_add_f16_e32 v92, v93, v96
	v_add_f16_e32 v93, v104, v96
	;; [unrolled: 1-line block ×4, first 2 shown]
	v_sub_f16_e32 v110, v23, v88
	v_add_f16_e32 v115, v42, v89
	v_sub_f16_e32 v42, v42, v89
	v_add_f16_e32 v23, v23, v88
	v_add_f16_e32 v106, v106, v96
	v_mul_f16_e32 v89, 0xba95, v110
	v_add_f16_e32 v107, v107, v96
	v_mul_f16_e32 v88, 0xba95, v42
	v_add_f16_e32 v112, v112, v96
	v_add_f16_e32 v109, v109, v96
	;; [unrolled: 1-line block ×3, first 2 shown]
	v_fma_f16 v116, v115, 0x388b, -v89
	v_add_f16_e32 v111, v111, v96
	v_add_f16_e32 v114, v114, v96
	v_add_f16_e32 v90, v90, v96
	v_fmamk_f16 v96, v23, 0x388b, v88
	v_add_f16_e32 v95, v116, v95
	v_mul_f16_e32 v116, 0xbb7b, v110
	v_fmac_f16_e32 v89, 0x388b, v115
	v_fma_f16 v88, v23, 0x388b, -v88
	v_add_f16_e32 v92, v96, v92
	v_mul_f16_e32 v96, 0xbb7b, v42
	v_fma_f16 v117, v115, 0xb5ac, -v116
	v_add_f16_e32 v89, v89, v97
	v_add_f16_e32 v88, v88, v93
	v_mul_f16_e32 v93, 0xb3a8, v110
	v_fmamk_f16 v97, v23, 0xb5ac, v96
	v_add_f16_e32 v98, v117, v98
	v_fmac_f16_e32 v116, 0xb5ac, v115
	v_fma_f16 v96, v23, 0xb5ac, -v96
	v_fma_f16 v117, v115, 0xbbc4, -v93
	v_add_f16_e32 v97, v97, v104
	v_mul_f16_e32 v104, 0xb3a8, v42
	v_add_f16_e32 v94, v116, v94
	v_add_f16_e32 v96, v96, v106
	;; [unrolled: 1-line block ×3, first 2 shown]
	v_mul_f16_e32 v106, 0x394e, v110
	v_fmamk_f16 v116, v23, 0xbbc4, v104
	v_fmac_f16_e32 v93, 0xbbc4, v115
	v_fma_f16 v104, v23, 0xbbc4, -v104
	v_mul_f16_e32 v117, 0x394e, v42
	v_fma_f16 v118, v115, 0xb9fd, -v106
	v_add_f16_e32 v108, v116, v108
	v_add_f16_e32 v91, v93, v91
	;; [unrolled: 1-line block ×3, first 2 shown]
	v_fmamk_f16 v104, v23, 0xb9fd, v117
	v_fmac_f16_e32 v106, 0xb9fd, v115
	v_mul_f16_e32 v107, 0x3bf1, v110
	v_mul_f16_e32 v116, 0x3bf1, v42
	;; [unrolled: 1-line block ×3, first 2 shown]
	v_add_f16_e32 v104, v104, v112
	v_fma_f16 v112, v23, 0xb9fd, -v117
	v_add_f16_e32 v100, v106, v100
	v_fma_f16 v106, v115, 0x2fb7, -v107
	v_fmamk_f16 v117, v23, 0x2fb7, v116
	v_fmac_f16_e32 v107, 0x2fb7, v115
	v_mul_f16_e32 v42, 0x3770, v42
	v_add_f16_e32 v109, v112, v109
	v_add_f16_e32 v103, v106, v103
	v_add_f16_e32 v106, v117, v113
	v_add_f16_e32 v102, v107, v102
	v_fma_f16 v107, v115, 0x3b15, -v110
	v_fmac_f16_e32 v110, 0x3b15, v115
	v_fma_f16 v112, v23, 0x2fb7, -v116
	v_sub_f16_e32 v113, v21, v70
	v_fmamk_f16 v115, v23, 0x3b15, v42
	v_fma_f16 v23, v23, 0x3b15, -v42
	v_add_f16_e32 v42, v22, v71
	v_sub_f16_e32 v22, v22, v71
	v_mul_f16_e32 v71, 0xbbf1, v113
	v_add_f16_e32 v21, v21, v70
	v_add_f16_e32 v105, v107, v105
	;; [unrolled: 1-line block ×3, first 2 shown]
	v_mul_f16_e32 v70, 0xbbf1, v22
	v_fma_f16 v107, v42, 0x2fb7, -v71
	v_fmac_f16_e32 v71, 0x2fb7, v42
	v_add_f16_e32 v85, v110, v85
	v_add_f16_e32 v101, v118, v101
	v_fmamk_f16 v90, v21, 0x2fb7, v70
	v_add_f16_e32 v95, v107, v95
	v_mul_f16_e32 v107, 0xb3a8, v113
	v_fma_f16 v70, v21, 0x2fb7, -v70
	v_add_f16_e32 v71, v71, v89
	v_add_f16_e32 v90, v90, v92
	v_mul_f16_e32 v92, 0xb3a8, v22
	v_fma_f16 v110, v42, 0xbbc4, -v107
	v_add_f16_e32 v70, v70, v88
	v_mul_f16_e32 v88, 0x3b7b, v113
	v_fmac_f16_e32 v107, 0xbbc4, v42
	v_fmamk_f16 v89, v21, 0xbbc4, v92
	v_add_f16_e32 v98, v110, v98
	v_fma_f16 v92, v21, 0xbbc4, -v92
	v_fma_f16 v110, v42, 0xb5ac, -v88
	v_add_f16_e32 v94, v107, v94
	v_add_f16_e32 v89, v89, v97
	v_mul_f16_e32 v97, 0x3b7b, v22
	v_add_f16_e32 v92, v92, v96
	v_add_f16_e32 v96, v110, v99
	v_mul_f16_e32 v99, 0x3770, v113
	v_fmac_f16_e32 v88, 0xb5ac, v42
	v_fmamk_f16 v107, v21, 0xb5ac, v97
	v_fma_f16 v97, v21, 0xb5ac, -v97
	v_mul_f16_e32 v110, 0x3770, v22
	v_add_f16_e32 v111, v112, v111
	v_add_f16_e32 v112, v115, v114
	v_fma_f16 v114, v42, 0x3b15, -v99
	v_add_f16_e32 v88, v88, v91
	v_add_f16_e32 v91, v97, v93
	v_fmamk_f16 v93, v21, 0x3b15, v110
	v_add_f16_e32 v107, v107, v108
	v_add_f16_e32 v97, v114, v101
	v_fmac_f16_e32 v99, 0x3b15, v42
	v_mul_f16_e32 v101, 0xba95, v113
	v_mul_f16_e32 v108, 0xba95, v22
	v_add_f16_e32 v93, v93, v104
	v_fma_f16 v104, v21, 0x3b15, -v110
	v_add_f16_e32 v99, v99, v100
	v_fma_f16 v100, v42, 0x388b, -v101
	v_fmamk_f16 v110, v21, 0x388b, v108
	v_fmac_f16_e32 v101, 0x388b, v42
	v_add_f16_e32 v104, v104, v109
	v_mul_f16_e32 v109, 0xb94e, v113
	v_mul_f16_e32 v22, 0xb94e, v22
	v_add_f16_e32 v100, v100, v103
	v_add_f16_e32 v103, v110, v106
	v_add_f16_e32 v101, v101, v102
	v_fma_f16 v102, v42, 0xb9fd, -v109
	v_fmac_f16_e32 v109, 0xb9fd, v42
	v_fma_f16 v42, v21, 0x388b, -v108
	v_sub_f16_e32 v106, v17, v43
	v_fmamk_f16 v108, v21, 0xb9fd, v22
	v_fma_f16 v21, v21, 0xb9fd, -v22
	v_add_f16_e32 v22, v18, v45
	v_sub_f16_e32 v18, v18, v45
	v_mul_f16_e32 v45, 0xbb7b, v106
	v_add_f16_e32 v17, v17, v43
	v_add_f16_e32 v102, v102, v105
	;; [unrolled: 1-line block ×3, first 2 shown]
	v_mul_f16_e32 v43, 0xbb7b, v18
	v_fma_f16 v105, v22, 0xb5ac, -v45
	v_fmac_f16_e32 v45, 0xb5ac, v22
	v_add_f16_e32 v85, v109, v85
	v_add_f16_e32 v42, v42, v111
	v_fmamk_f16 v23, v17, 0xb5ac, v43
	v_add_f16_e32 v95, v105, v95
	v_mul_f16_e32 v105, 0x394e, v106
	v_fma_f16 v43, v17, 0xb5ac, -v43
	v_add_f16_e32 v45, v45, v71
	v_add_f16_e32 v23, v23, v90
	v_mul_f16_e32 v90, 0x394e, v18
	v_fma_f16 v109, v22, 0xb9fd, -v105
	v_add_f16_e32 v43, v43, v70
	v_mul_f16_e32 v70, 0x3770, v106
	v_fmac_f16_e32 v105, 0xb9fd, v22
	v_fmamk_f16 v71, v17, 0xb9fd, v90
	v_add_f16_e32 v98, v109, v98
	v_fma_f16 v90, v17, 0xb9fd, -v90
	v_fma_f16 v109, v22, 0x3b15, -v70
	v_add_f16_e32 v94, v105, v94
	v_add_f16_e32 v71, v71, v89
	v_mul_f16_e32 v89, 0x3770, v18
	v_add_f16_e32 v90, v90, v92
	v_add_f16_e32 v92, v109, v96
	v_mul_f16_e32 v96, 0xbbf1, v106
	v_fmac_f16_e32 v70, 0x3b15, v22
	v_fmamk_f16 v105, v17, 0x3b15, v89
	v_fma_f16 v89, v17, 0x3b15, -v89
	v_mul_f16_e32 v109, 0xbbf1, v18
	v_fma_f16 v110, v22, 0x2fb7, -v96
	v_add_f16_e32 v70, v70, v88
	v_fmac_f16_e32 v96, 0x2fb7, v22
	v_add_f16_e32 v88, v89, v91
	v_fmamk_f16 v89, v17, 0x2fb7, v109
	v_add_f16_e32 v91, v110, v97
	v_mul_f16_e32 v97, 0x33a8, v106
	v_add_f16_e32 v105, v105, v107
	v_mul_f16_e32 v107, 0x33a8, v18
	v_add_f16_e32 v89, v89, v93
	v_fma_f16 v93, v17, 0x2fb7, -v109
	v_add_f16_e32 v96, v96, v99
	v_fma_f16 v99, v22, 0xbbc4, -v97
	v_fmac_f16_e32 v97, 0xbbc4, v22
	v_fmamk_f16 v109, v17, 0xbbc4, v107
	v_add_f16_e32 v93, v93, v104
	v_mul_f16_e32 v104, 0x3a95, v106
	v_mul_f16_e32 v18, 0x3a95, v18
	v_add_f16_e32 v97, v97, v101
	v_add_f16_e32 v99, v99, v100
	;; [unrolled: 1-line block ×3, first 2 shown]
	v_fma_f16 v101, v22, 0x388b, -v104
	v_fmac_f16_e32 v104, 0x388b, v22
	v_sub_f16_e32 v22, v6, v7
	v_fma_f16 v103, v17, 0xbbc4, -v107
	v_fmamk_f16 v106, v17, 0x388b, v18
	v_fma_f16 v17, v17, 0x388b, -v18
	v_add_f16_e32 v18, v9, v8
	v_mul_f16_e32 v107, 0xb94e, v22
	v_sub_f16_e32 v8, v9, v8
	v_add_f16_e32 v9, v103, v42
	v_add_f16_e32 v42, v101, v102
	;; [unrolled: 1-line block ×3, first 2 shown]
	v_fma_f16 v7, v18, 0xb9fd, -v107
	v_mul_f16_e32 v101, 0xb94e, v8
	v_add_f16_e32 v17, v17, v21
	v_mul_f16_e32 v103, 0x3bf1, v8
	v_add_f16_e32 v85, v104, v85
	v_add_f16_e32 v7, v7, v95
	v_fmamk_f16 v21, v6, 0xb9fd, v101
	v_mul_f16_e32 v95, 0x3bf1, v22
	v_fma_f16 v101, v6, 0xb9fd, -v101
	v_mul_f16_e32 v104, 0xba95, v22
	v_add_f16_e32 v108, v108, v112
	v_add_f16_e32 v21, v21, v23
	v_fma_f16 v23, v18, 0x2fb7, -v95
	v_add_f16_e32 v43, v101, v43
	v_fmamk_f16 v101, v6, 0x2fb7, v103
	v_fmac_f16_e32 v95, 0x2fb7, v18
	v_add_f16_e32 v102, v106, v108
	v_add_f16_e32 v98, v23, v98
	v_fma_f16 v23, v6, 0x2fb7, -v103
	v_add_f16_e32 v71, v101, v71
	v_fma_f16 v101, v18, 0x388b, -v104
	v_mul_f16_e32 v103, 0xba95, v8
	v_add_f16_e32 v94, v95, v94
	v_add_f16_e32 v90, v23, v90
	v_mul_f16_e32 v23, 0x33a8, v22
	v_add_f16_e32 v92, v101, v92
	v_fmamk_f16 v95, v6, 0x388b, v103
	v_fmac_f16_e32 v104, 0x388b, v18
	v_fma_f16 v101, v6, 0x388b, -v103
	v_fma_f16 v103, v18, 0xbbc4, -v23
	v_mul_f16_e32 v106, 0x33a8, v8
	v_fmac_f16_e32 v23, 0xbbc4, v18
	v_add_f16_e32 v70, v104, v70
	v_add_f16_e32 v88, v101, v88
	v_add_f16_e32 v91, v103, v91
	v_fmamk_f16 v101, v6, 0xbbc4, v106
	v_mul_f16_e32 v103, 0x3770, v22
	v_mul_f16_e32 v104, 0x3770, v8
	v_add_f16_e32 v96, v23, v96
	v_mul_f16_e32 v22, 0xbb7b, v22
	v_add_f16_e32 v89, v101, v89
	v_fma_f16 v23, v18, 0x3b15, -v103
	v_fmamk_f16 v101, v6, 0x3b15, v104
	v_fmac_f16_e32 v103, 0x3b15, v18
	v_mul_f16_e32 v8, 0xbb7b, v8
	v_fmac_f16_e32 v107, 0xb9fd, v18
	v_add_f16_e32 v95, v95, v105
	v_fma_f16 v105, v6, 0xbbc4, -v106
	v_add_f16_e32 v99, v23, v99
	v_add_f16_e32 v100, v101, v100
	;; [unrolled: 1-line block ×3, first 2 shown]
	v_fma_f16 v23, v18, 0xb5ac, -v22
	v_fmac_f16_e32 v22, 0xb5ac, v18
	v_fma_f16 v18, v6, 0x3b15, -v104
	v_fmamk_f16 v101, v6, 0xb5ac, v8
	v_sub_f16_e32 v103, v2, v5
	v_fma_f16 v6, v6, 0xb5ac, -v8
	v_sub_f16_e32 v8, v3, v4
	v_add_f16_e32 v3, v3, v4
	v_add_f16_e32 v2, v2, v5
	v_mul_f16_e32 v4, 0xb3a8, v103
	v_add_f16_e32 v45, v107, v45
	v_mul_f16_e32 v5, 0xb3a8, v8
	v_add_f16_e32 v9, v18, v9
	v_add_f16_e32 v18, v23, v42
	v_fma_f16 v23, v3, 0xbbc4, -v4
	v_add_f16_e32 v85, v22, v85
	v_fmamk_f16 v22, v2, 0xbbc4, v5
	v_fmac_f16_e32 v4, 0xbbc4, v3
	v_fma_f16 v5, v2, 0xbbc4, -v5
	v_mul_f16_e32 v42, 0x3770, v8
	v_add_f16_e32 v7, v23, v7
	v_add_f16_e32 v104, v22, v21
	;; [unrolled: 1-line block ×4, first 2 shown]
	v_fmamk_f16 v4, v2, 0x3b15, v42
	v_mul_f16_e32 v43, 0xb94e, v103
	v_add_f16_e32 v6, v6, v17
	v_mul_f16_e32 v17, 0x3770, v103
	v_fma_f16 v42, v2, 0x3b15, -v42
	v_add_f16_e32 v4, v4, v71
	v_fma_f16 v71, v3, 0xb9fd, -v43
	v_add_f16_e32 v101, v101, v102
	v_fma_f16 v102, v3, 0x3b15, -v17
	v_fmac_f16_e32 v17, 0x3b15, v3
	v_mul_f16_e32 v45, 0xb94e, v8
	v_add_f16_e32 v42, v42, v90
	v_mul_f16_e32 v90, 0x3a95, v103
	v_add_f16_e32 v71, v71, v92
	v_fmac_f16_e32 v43, 0xb9fd, v3
	v_mul_f16_e32 v92, 0x3a95, v8
	v_add_f16_e32 v22, v17, v94
	v_fmamk_f16 v17, v2, 0xb9fd, v45
	v_fma_f16 v45, v2, 0xb9fd, -v45
	v_fma_f16 v94, v3, 0x388b, -v90
	v_add_f16_e32 v43, v43, v70
	v_fmamk_f16 v70, v2, 0x388b, v92
	v_add_f16_e32 v93, v105, v93
	v_add_f16_e32 v45, v45, v88
	;; [unrolled: 1-line block ×3, first 2 shown]
	v_mul_f16_e32 v94, 0xbb7b, v8
	v_add_f16_e32 v70, v70, v89
	v_fma_f16 v89, v2, 0x388b, -v92
	v_add_f16_e32 v17, v17, v95
	v_fmac_f16_e32 v90, 0x388b, v3
	v_mul_f16_e32 v91, 0xbb7b, v103
	v_fmamk_f16 v95, v2, 0xb5ac, v94
	v_add_f16_e32 v89, v89, v93
	v_mul_f16_e32 v93, 0x3bf1, v103
	v_mul_f16_e32 v8, 0x3bf1, v8
	v_fma_f16 v94, v2, 0xb5ac, -v94
	v_add_f16_e32 v90, v90, v96
	v_fma_f16 v92, v3, 0xb5ac, -v91
	v_fmac_f16_e32 v91, 0xb5ac, v3
	v_fma_f16 v96, v3, 0x2fb7, -v93
	v_fmac_f16_e32 v93, 0x2fb7, v3
	v_fmamk_f16 v3, v2, 0x2fb7, v8
	v_fma_f16 v2, v2, 0x2fb7, -v8
	v_add_f16_e32 v8, v94, v9
	v_lshlrev_b32_e32 v9, 2, v68
	s_wait_alu 0xf1ff
	v_cndmask_b32_e64 v68, 0, 0x548, s1
	v_pack_b32_f16 v0, v0, v1
	v_add_f16_e32 v2, v2, v6
	v_pack_b32_f16 v1, v14, v15
	v_pack_b32_f16 v14, v20, v44
	v_add3_u32 v6, 0, v68, v9
	v_pack_b32_f16 v9, v16, v19
	global_wb scope:SCOPE_SE
	s_barrier_signal -1
	s_barrier_wait -1
	global_inv scope:SCOPE_SE
	ds_store_2addr_b32 v6, v0, v1 offset1:26
	ds_store_2addr_b32 v6, v9, v14 offset0:52 offset1:78
	v_and_b32_e32 v0, 0xffff, v69
	v_pack_b32_f16 v15, v75, v77
	v_pack_b32_f16 v16, v80, v82
	;; [unrolled: 1-line block ×4, first 2 shown]
	v_mul_u32_u24_e32 v0, 0x548, v0
	v_lshlrev_b32_e32 v14, 2, v40
	v_add_f16_e32 v5, v102, v98
	v_add_f16_e32 v92, v92, v99
	;; [unrolled: 1-line block ×3, first 2 shown]
	v_pack_b32_f16 v1, v76, v78
	v_pack_b32_f16 v9, v73, v74
	v_add_f16_e32 v18, v96, v18
	v_add_f16_e32 v3, v3, v101
	;; [unrolled: 1-line block ×3, first 2 shown]
	ds_store_2addr_b32 v6, v15, v16 offset0:104 offset1:130
	ds_store_2addr_b32 v6, v19, v20 offset0:156 offset1:182
	v_pack_b32_f16 v15, v67, v72
	v_pack_b32_f16 v12, v12, v13
	v_add_nc_u32_e32 v13, 0x400, v6
	v_add_f16_e32 v91, v91, v97
	v_pack_b32_f16 v10, v10, v11
	v_add3_u32 v0, 0, v0, v14
	v_pack_b32_f16 v11, v81, v79
	v_pack_b32_f16 v7, v7, v104
	;; [unrolled: 1-line block ×4, first 2 shown]
	ds_store_2addr_b32 v6, v1, v9 offset0:208 offset1:234
	ds_store_2addr_b32 v13, v15, v12 offset0:4 offset1:30
	ds_store_b32 v6, v10 offset:1248
	ds_store_2addr_b32 v0, v11, v7 offset1:26
	ds_store_2addr_b32 v0, v4, v5 offset0:52 offset1:78
	v_pack_b32_f16 v1, v88, v70
	v_pack_b32_f16 v4, v92, v95
	;; [unrolled: 1-line block ×8, first 2 shown]
	v_add_nc_u32_e32 v9, 0x400, v0
	v_pack_b32_f16 v10, v21, v23
	v_lshl_add_u32 v20, v38, 2, 0
	ds_store_2addr_b32 v0, v1, v4 offset0:104 offset1:130
	ds_store_2addr_b32 v0, v3, v2 offset0:156 offset1:182
	;; [unrolled: 1-line block ×4, first 2 shown]
	ds_store_b32 v0, v10 offset:1248
	global_wb scope:SCOPE_SE
	s_wait_dscnt 0x0
	s_barrier_signal -1
	s_barrier_wait -1
	global_inv scope:SCOPE_SE
	ds_load_2addr_b32 v[16:17], v56 offset0:82 offset1:134
	ds_load_2addr_b32 v[14:15], v53 offset0:164 offset1:216
	;; [unrolled: 1-line block ×6, first 2 shown]
	ds_load_b32 v68, v46
	ds_load_b32 v67, v59
	;; [unrolled: 1-line block ×3, first 2 shown]
	v_lshl_add_u32 v19, v36, 2, 0
	ds_load_2addr_b32 v[4:5], v53 offset0:34 offset1:86
	ds_load_2addr_b32 v[2:3], v57 offset0:116 offset1:168
	;; [unrolled: 1-line block ×3, first 2 shown]
	ds_load_b32 v56, v64
	ds_load_b32 v57, v63
	;; [unrolled: 1-line block ×3, first 2 shown]
	v_sub_nc_u32_e32 v18, 0, v62
	v_sub_nc_u32_e32 v43, 0, v58
	;; [unrolled: 1-line block ×3, first 2 shown]
                                        ; implicit-def: $vgpr45
                                        ; implicit-def: $vgpr44
                                        ; implicit-def: $vgpr53
	s_delay_alu instid0(VALU_DEP_3)
	v_add_nc_u32_e32 v18, v54, v18
                                        ; implicit-def: $vgpr54
	s_and_saveexec_b32 s1, s0
	s_cbranch_execz .LBB0_15
; %bb.14:
	ds_load_b32 v22, v18
	ds_load_b32 v21, v46 offset:2600
	ds_load_b32 v44, v46 offset:3952
	;; [unrolled: 1-line block ×3, first 2 shown]
	v_mov_b32_e32 v66, v35
	s_wait_dscnt 0x3
	v_lshrrev_b32_e32 v42, 16, v22
	s_wait_dscnt 0x2
	v_lshrrev_b32_e32 v23, 16, v21
	;; [unrolled: 2-line block ×4, first 2 shown]
.LBB0_15:
	s_wait_alu 0xfffe
	s_or_b32 exec_lo, exec_lo, s1
	v_mul_i32_i24_e32 v40, 3, v28
	v_mul_u32_u24_e32 v61, 3, v24
	s_wait_dscnt 0xc
	v_lshrrev_b32_e32 v103, 16, v12
	v_lshrrev_b32_e32 v104, 16, v14
	;; [unrolled: 1-line block ×3, first 2 shown]
	v_lshlrev_b64_e32 v[69:70], 2, v[40:41]
	v_mul_i32_i24_e32 v40, 3, v39
	v_lshlrev_b32_e32 v61, 2, v61
	v_add_nc_u32_e32 v43, v52, v43
	v_lshrrev_b32_e32 v100, 16, v13
	v_lshrrev_b32_e32 v101, 16, v15
	v_lshlrev_b64_e32 v[72:73], 2, v[40:41]
	v_mul_i32_i24_e32 v40, 3, v38
	v_add_co_u32 v69, s1, s8, v69
	global_load_b96 v[61:63], v61, s[8:9] offset:1344
	s_wait_alu 0xf1ff
	v_add_co_ci_u32_e64 v70, s1, s9, v70, s1
	v_lshlrev_b64_e32 v[75:76], 2, v[40:41]
	v_mul_i32_i24_e32 v40, 3, v37
	v_add_co_u32 v72, s1, s8, v72
	global_load_b96 v[69:71], v[69:70], off offset:1344
	s_wait_alu 0xf1ff
	v_add_co_ci_u32_e64 v73, s1, s9, v73, s1
	v_lshlrev_b64_e32 v[78:79], 2, v[40:41]
	v_mul_i32_i24_e32 v40, 3, v36
	v_add_co_u32 v75, s1, s8, v75
	global_load_b96 v[72:74], v[72:73], off offset:1344
	s_wait_alu 0xf1ff
	v_add_co_ci_u32_e64 v76, s1, s9, v76, s1
	v_lshlrev_b64_e32 v[40:41], 2, v[40:41]
	v_add_co_u32 v78, s1, s8, v78
	global_load_b96 v[75:77], v[75:76], off offset:1344
	s_wait_alu 0xf1ff
	v_add_co_ci_u32_e64 v79, s1, s9, v79, s1
	v_add_co_u32 v40, s1, s8, v40
	s_wait_alu 0xf1ff
	v_add_co_ci_u32_e64 v41, s1, s9, v41, s1
	global_load_b96 v[78:80], v[78:79], off offset:1344
	v_lshrrev_b32_e32 v102, 16, v17
	s_wait_dscnt 0xa
	v_lshrrev_b32_e32 v85, 16, v10
	global_load_b96 v[81:83], v[40:41], off offset:1344
	v_add_nc_u32_e32 v41, v51, v58
	s_wait_dscnt 0x8
	v_lshrrev_b32_e32 v40, 16, v68
	v_lshrrev_b32_e32 v86, 16, v8
	;; [unrolled: 1-line block ×6, first 2 shown]
	s_wait_dscnt 0x7
	v_lshrrev_b32_e32 v64, 16, v67
	s_wait_dscnt 0x5
	v_lshrrev_b32_e32 v92, 16, v4
	;; [unrolled: 2-line block ×5, first 2 shown]
	v_lshrrev_b32_e32 v87, 16, v65
	v_lshrrev_b32_e32 v96, 16, v5
	;; [unrolled: 1-line block ×5, first 2 shown]
	s_wait_dscnt 0x0
	v_lshrrev_b32_e32 v95, 16, v55
	global_wb scope:SCOPE_SE
	s_wait_loadcnt 0x0
	s_barrier_signal -1
	s_barrier_wait -1
	global_inv scope:SCOPE_SE
	v_lshrrev_b32_e32 v51, 16, v61
	v_lshrrev_b32_e32 v52, 16, v62
	;; [unrolled: 1-line block ×3, first 2 shown]
	s_delay_alu instid0(VALU_DEP_3) | instskip(SKIP_1) | instid1(VALU_DEP_4)
	v_mul_f16_e32 v106, v51, v105
	v_mul_f16_e32 v51, v51, v16
	;; [unrolled: 1-line block ×6, first 2 shown]
	v_lshrrev_b32_e32 v109, 16, v69
	v_lshrrev_b32_e32 v110, 16, v70
	;; [unrolled: 1-line block ×3, first 2 shown]
	v_fma_f16 v16, v61, v16, -v106
	v_fmac_f16_e32 v51, v61, v105
	v_fma_f16 v14, v62, v14, -v107
	v_fmac_f16_e32 v52, v62, v104
	;; [unrolled: 2-line block ×3, first 2 shown]
	v_mul_f16_e32 v61, v109, v102
	v_mul_f16_e32 v62, v109, v17
	;; [unrolled: 1-line block ×6, first 2 shown]
	v_lshrrev_b32_e32 v106, 16, v72
	v_lshrrev_b32_e32 v107, 16, v73
	;; [unrolled: 1-line block ×3, first 2 shown]
	v_sub_f16_e32 v14, v68, v14
	v_sub_f16_e32 v52, v40, v52
	;; [unrolled: 1-line block ×4, first 2 shown]
	v_fma_f16 v17, v69, v17, -v61
	v_fmac_f16_e32 v62, v69, v102
	v_fma_f16 v15, v70, v15, -v63
	v_fmac_f16_e32 v103, v70, v101
	;; [unrolled: 2-line block ×3, first 2 shown]
	v_mul_f16_e32 v61, v106, v99
	v_mul_f16_e32 v63, v106, v6
	;; [unrolled: 1-line block ×6, first 2 shown]
	v_lshrrev_b32_e32 v101, 16, v75
	v_lshrrev_b32_e32 v102, 16, v76
	;; [unrolled: 1-line block ×3, first 2 shown]
	v_fma_f16 v68, v68, 2.0, -v14
	v_fma_f16 v40, v40, 2.0, -v52
	;; [unrolled: 1-line block ×4, first 2 shown]
	v_sub_f16_e32 v58, v14, v58
	v_add_f16_e32 v12, v52, v12
	v_fma_f16 v6, v72, v6, -v61
	v_fmac_f16_e32 v63, v72, v99
	v_fma_f16 v10, v10, v73, -v69
	v_fmac_f16_e32 v70, v85, v73
	;; [unrolled: 2-line block ×3, first 2 shown]
	v_mul_f16_e32 v61, v88, v101
	v_mul_f16_e32 v69, v7, v101
	;; [unrolled: 1-line block ×6, first 2 shown]
	v_lshrrev_b32_e32 v85, 16, v78
	v_lshrrev_b32_e32 v86, 16, v79
	;; [unrolled: 1-line block ×3, first 2 shown]
	v_sub_f16_e32 v15, v67, v15
	v_sub_f16_e32 v13, v17, v13
	;; [unrolled: 1-line block ×6, first 2 shown]
	v_fma_f16 v14, v14, 2.0, -v58
	v_fma_f16 v52, v52, 2.0, -v12
	v_pack_b32_f16 v12, v58, v12
	v_fma_f16 v7, v7, v75, -v61
	v_fmac_f16_e32 v69, v88, v75
	v_fma_f16 v11, v11, v76, -v71
	v_fmac_f16_e32 v72, v89, v76
	;; [unrolled: 2-line block ×3, first 2 shown]
	v_mul_f16_e32 v58, v92, v85
	v_mul_f16_e32 v61, v4, v85
	;; [unrolled: 1-line block ×5, first 2 shown]
	v_lshrrev_b32_e32 v77, 16, v81
	v_lshrrev_b32_e32 v85, 16, v82
	;; [unrolled: 1-line block ×3, first 2 shown]
	v_fma_f16 v67, v67, 2.0, -v15
	v_fma_f16 v17, v17, 2.0, -v13
	v_mul_f16_e32 v76, v0, v99
	v_fma_f16 v64, v64, 2.0, -v101
	v_fma_f16 v62, v62, 2.0, -v102
	v_sub_f16_e32 v10, v57, v10
	v_sub_f16_e32 v70, v84, v70
	;; [unrolled: 1-line block ×4, first 2 shown]
	v_fma_f16 v68, v68, 2.0, -v16
	v_fma_f16 v40, v40, 2.0, -v51
	v_pack_b32_f16 v14, v14, v52
	v_pack_b32_f16 v16, v16, v51
	v_fma_f16 v4, v4, v78, -v58
	v_fma_f16 v2, v2, v79, -v71
	;; [unrolled: 1-line block ×3, first 2 shown]
	v_mul_f16_e32 v51, v96, v77
	v_mul_f16_e32 v52, v5, v77
	;; [unrolled: 1-line block ×6, first 2 shown]
	v_sub_f16_e32 v17, v67, v17
	v_sub_f16_e32 v11, v65, v11
	;; [unrolled: 1-line block ×5, first 2 shown]
	v_fmac_f16_e32 v61, v92, v78
	v_fmac_f16_e32 v73, v93, v79
	;; [unrolled: 1-line block ×3, first 2 shown]
	v_sub_f16_e32 v62, v64, v62
	v_fma_f16 v57, v57, 2.0, -v10
	v_fma_f16 v6, v6, 2.0, -v8
	v_add_f16_e32 v8, v70, v8
	v_fma_f16 v79, v84, 2.0, -v70
	v_fma_f16 v63, v63, 2.0, -v89
	v_pack_b32_f16 v40, v68, v40
	v_fma_f16 v5, v5, v81, -v51
	v_fmac_f16_e32 v52, v96, v81
	v_fma_f16 v3, v3, v82, -v58
	v_fmac_f16_e32 v71, v97, v82
	v_fma_f16 v1, v1, v83, -v75
	v_fmac_f16_e32 v77, v98, v83
	v_fma_f16 v51, v67, 2.0, -v17
	v_fma_f16 v65, v65, 2.0, -v11
	;; [unrolled: 1-line block ×5, first 2 shown]
	v_sub_f16_e32 v88, v15, v102
	v_add_f16_e32 v13, v101, v13
	v_fma_f16 v58, v64, 2.0, -v62
	v_sub_f16_e32 v6, v57, v6
	v_fma_f16 v64, v70, 2.0, -v8
	v_sub_f16_e32 v2, v56, v2
	v_sub_f16_e32 v70, v91, v73
	v_sub_f16_e32 v0, v4, v0
	v_sub_f16_e32 v73, v61, v76
	v_sub_f16_e32 v63, v79, v63
	ds_store_b32 v46, v40
	ds_store_b32 v46, v14 offset:1352
	ds_store_b32 v46, v16 offset:2704
	;; [unrolled: 1-line block ×3, first 2 shown]
	v_sub_f16_e32 v7, v65, v7
	v_sub_f16_e32 v16, v67, v68
	;; [unrolled: 1-line block ×6, first 2 shown]
	v_fma_f16 v15, v15, 2.0, -v88
	v_fma_f16 v78, v101, 2.0, -v13
	v_sub_f16_e32 v80, v10, v89
	v_fma_f16 v12, v57, 2.0, -v6
	v_fma_f16 v56, v56, 2.0, -v2
	;; [unrolled: 1-line block ×6, first 2 shown]
	v_pack_b32_f16 v51, v51, v58
	v_fma_f16 v58, v65, 2.0, -v7
	v_fma_f16 v55, v55, 2.0, -v3
	;; [unrolled: 1-line block ×6, first 2 shown]
	v_sub_f16_e32 v69, v11, v74
	v_add_f16_e32 v9, v72, v9
	v_pack_b32_f16 v15, v15, v78
	v_sub_f16_e32 v4, v56, v4
	v_sub_f16_e32 v61, v57, v61
	v_pack_b32_f16 v17, v17, v62
	v_sub_f16_e32 v62, v2, v73
	v_add_f16_e32 v0, v70, v0
	v_pack_b32_f16 v13, v88, v13
	v_pack_b32_f16 v6, v6, v63
	v_fma_f16 v63, v67, 2.0, -v16
	ds_store_b32 v59, v51
	ds_store_b32 v59, v15 offset:1352
	ds_store_b32 v59, v17 offset:2704
	;; [unrolled: 1-line block ×3, first 2 shown]
	v_pack_b32_f16 v12, v12, v14
	v_sub_f16_e32 v5, v55, v5
	v_sub_f16_e32 v15, v65, v52
	v_fma_f16 v11, v11, 2.0, -v69
	v_fma_f16 v40, v72, 2.0, -v9
	v_pack_b32_f16 v10, v10, v64
	v_sub_f16_e32 v67, v3, v71
	v_add_f16_e32 v1, v68, v1
	v_fma_f16 v13, v56, 2.0, -v4
	v_fma_f16 v14, v57, 2.0, -v61
	;; [unrolled: 1-line block ×4, first 2 shown]
	v_pack_b32_f16 v8, v80, v8
	ds_store_b32 v43, v12
	ds_store_b32 v43, v10 offset:1352
	ds_store_b32 v43, v6 offset:2704
	;; [unrolled: 1-line block ×3, first 2 shown]
	v_pack_b32_f16 v6, v58, v63
	v_fma_f16 v8, v55, 2.0, -v5
	v_fma_f16 v10, v65, 2.0, -v15
	v_pack_b32_f16 v11, v11, v40
	v_pack_b32_f16 v7, v7, v16
	v_fma_f16 v3, v3, 2.0, -v67
	v_fma_f16 v16, v68, 2.0, -v1
	v_pack_b32_f16 v12, v13, v14
	v_pack_b32_f16 v2, v2, v64
	;; [unrolled: 1-line block ×5, first 2 shown]
	ds_store_b32 v20, v6
	ds_store_b32 v20, v11 offset:1352
	ds_store_b32 v20, v7 offset:2704
	;; [unrolled: 1-line block ×3, first 2 shown]
	v_pack_b32_f16 v6, v8, v10
	v_pack_b32_f16 v1, v67, v1
	;; [unrolled: 1-line block ×4, first 2 shown]
	ds_store_b32 v41, v12
	ds_store_b32 v41, v2 offset:1352
	ds_store_b32 v41, v4 offset:2704
	;; [unrolled: 1-line block ×3, first 2 shown]
	ds_store_b32 v19, v6
	ds_store_b32 v19, v3 offset:1352
	ds_store_b32 v19, v5 offset:2704
	;; [unrolled: 1-line block ×3, first 2 shown]
	s_and_saveexec_b32 s1, s0
	s_cbranch_execz .LBB0_17
; %bb.16:
	v_mul_i32_i24_e32 v0, 3, v66
	v_mov_b32_e32 v1, 0
	s_delay_alu instid0(VALU_DEP_1) | instskip(NEXT) | instid1(VALU_DEP_1)
	v_lshlrev_b64_e32 v[0:1], 2, v[0:1]
	v_add_co_u32 v0, s0, s8, v0
	s_wait_alu 0xf1ff
	s_delay_alu instid0(VALU_DEP_2)
	v_add_co_ci_u32_e64 v1, s0, s9, v1, s0
	global_load_b96 v[0:2], v[0:1], off offset:1344
	s_wait_loadcnt 0x0
	v_lshrrev_b32_e32 v3, 16, v1
	v_lshrrev_b32_e32 v4, 16, v0
	;; [unrolled: 1-line block ×3, first 2 shown]
	s_delay_alu instid0(VALU_DEP_3) | instskip(NEXT) | instid1(VALU_DEP_3)
	v_mul_f16_e32 v6, v45, v3
	v_mul_f16_e32 v7, v21, v4
	s_delay_alu instid0(VALU_DEP_3)
	v_mul_f16_e32 v8, v53, v5
	v_mul_f16_e32 v4, v23, v4
	;; [unrolled: 1-line block ×4, first 2 shown]
	v_fma_f16 v6, v44, v1, -v6
	v_fmac_f16_e32 v7, v23, v0
	v_fma_f16 v0, v21, v0, -v4
	v_fma_f16 v4, v53, v2, -v5
	v_fmac_f16_e32 v3, v45, v1
	v_fmac_f16_e32 v8, v54, v2
	v_sub_f16_e32 v1, v22, v6
	s_delay_alu instid0(VALU_DEP_4) | instskip(NEXT) | instid1(VALU_DEP_4)
	v_sub_f16_e32 v2, v0, v4
	v_sub_f16_e32 v3, v42, v3
	s_delay_alu instid0(VALU_DEP_4) | instskip(NEXT) | instid1(VALU_DEP_4)
	v_sub_f16_e32 v4, v7, v8
	v_fma_f16 v5, v22, 2.0, -v1
	s_delay_alu instid0(VALU_DEP_4) | instskip(NEXT) | instid1(VALU_DEP_4)
	v_fma_f16 v0, v0, 2.0, -v2
	v_fma_f16 v6, v42, 2.0, -v3
	s_delay_alu instid0(VALU_DEP_4) | instskip(SKIP_3) | instid1(VALU_DEP_4)
	v_fma_f16 v7, v7, 2.0, -v4
	v_sub_f16_e32 v4, v1, v4
	v_add_f16_e32 v2, v3, v2
	v_sub_f16_e32 v0, v5, v0
	v_sub_f16_e32 v7, v6, v7
	s_delay_alu instid0(VALU_DEP_4) | instskip(NEXT) | instid1(VALU_DEP_4)
	v_fma_f16 v1, v1, 2.0, -v4
	v_fma_f16 v3, v3, 2.0, -v2
	s_delay_alu instid0(VALU_DEP_4) | instskip(SKIP_4) | instid1(VALU_DEP_3)
	v_fma_f16 v5, v5, 2.0, -v0
	v_pack_b32_f16 v2, v4, v2
	v_fma_f16 v6, v6, 2.0, -v7
	v_pack_b32_f16 v0, v0, v7
	v_pack_b32_f16 v1, v1, v3
	;; [unrolled: 1-line block ×3, first 2 shown]
	ds_store_b32 v46, v5 offset:1248
	ds_store_b32 v46, v1 offset:2600
	;; [unrolled: 1-line block ×4, first 2 shown]
.LBB0_17:
	s_wait_alu 0xfffe
	s_or_b32 exec_lo, exec_lo, s1
	global_wb scope:SCOPE_SE
	s_wait_dscnt 0x0
	s_barrier_signal -1
	s_barrier_wait -1
	global_inv scope:SCOPE_SE
	ds_load_b32 v9, v46
	v_sub_nc_u32_e32 v2, 0, v25
	s_mov_b32 s1, exec_lo
                                        ; implicit-def: $vgpr8
                                        ; implicit-def: $vgpr7
                                        ; implicit-def: $vgpr6
                                        ; implicit-def: $vgpr0_vgpr1
	s_wait_dscnt 0x0
	v_lshrrev_b32_e32 v10, 16, v9
	v_cmpx_ne_u32_e32 0, v24
	s_wait_alu 0xfffe
	s_xor_b32 s1, exec_lo, s1
	s_cbranch_execz .LBB0_19
; %bb.18:
	v_mov_b32_e32 v25, 0
	s_delay_alu instid0(VALU_DEP_1) | instskip(NEXT) | instid1(VALU_DEP_1)
	v_lshlrev_b64_e32 v[0:1], 2, v[24:25]
	v_add_co_u32 v0, s0, s8, v0
	s_wait_alu 0xf1ff
	s_delay_alu instid0(VALU_DEP_2)
	v_add_co_ci_u32_e64 v1, s0, s9, v1, s0
	global_load_b32 v0, v[0:1], off offset:5400
	ds_load_b32 v1, v2 offset:5408
	s_wait_dscnt 0x0
	v_sub_f16_e32 v4, v9, v1
	v_lshrrev_b32_e32 v3, 16, v1
	v_add_f16_e32 v1, v1, v9
	s_delay_alu instid0(VALU_DEP_3) | instskip(NEXT) | instid1(VALU_DEP_3)
	v_mul_f16_e32 v4, 0.5, v4
	v_add_f16_e32 v5, v3, v10
	v_sub_f16_e32 v3, v10, v3
                                        ; implicit-def: $vgpr10
	s_delay_alu instid0(VALU_DEP_2) | instskip(NEXT) | instid1(VALU_DEP_2)
	v_mul_f16_e32 v5, 0.5, v5
	v_mul_f16_e32 v3, 0.5, v3
	s_wait_loadcnt 0x0
	v_lshrrev_b32_e32 v6, 16, v0
	s_delay_alu instid0(VALU_DEP_1) | instskip(NEXT) | instid1(VALU_DEP_3)
	v_mul_f16_e32 v7, v6, v4
	v_fma_f16 v8, v5, v6, v3
	v_fma_f16 v3, v5, v6, -v3
	s_delay_alu instid0(VALU_DEP_3) | instskip(SKIP_1) | instid1(VALU_DEP_4)
	v_fma_f16 v9, 0.5, v1, v7
	v_fma_f16 v1, v1, 0.5, -v7
	v_fma_f16 v6, -v0, v4, v8
	s_delay_alu instid0(VALU_DEP_4) | instskip(NEXT) | instid1(VALU_DEP_4)
	v_fma_f16 v8, -v0, v4, v3
	v_fmac_f16_e32 v9, v0, v5
	s_delay_alu instid0(VALU_DEP_4)
	v_fma_f16 v7, -v0, v5, v1
	v_dual_mov_b32 v0, v24 :: v_dual_mov_b32 v1, v25
	ds_store_b16 v46, v9
                                        ; implicit-def: $vgpr9
.LBB0_19:
	s_wait_alu 0xfffe
	s_or_saveexec_b32 s0, s1
	v_sub_nc_u32_e32 v5, 0, v60
	v_sub_nc_u32_e32 v4, 0, v29
	;; [unrolled: 1-line block ×3, first 2 shown]
	s_wait_alu 0xfffe
	s_xor_b32 exec_lo, exec_lo, s0
	s_cbranch_execz .LBB0_21
; %bb.20:
	v_mov_b32_e32 v6, 0
	v_add_f16_e32 v11, v10, v9
	v_sub_f16_e32 v7, v9, v10
	v_mov_b32_e32 v8, 0
	ds_load_u16 v0, v6 offset:2706
	s_wait_dscnt 0x0
	v_xor_b32_e32 v9, 0x8000, v0
	v_mov_b32_e32 v0, 0
	v_mov_b32_e32 v1, 0
	ds_store_b16 v46, v11
	ds_store_b16 v6, v9 offset:2706
.LBB0_21:
	s_or_b32 exec_lo, exec_lo, s0
	v_dual_mov_b32 v29, 0 :: v_dual_add_nc_u32 v4, v48, v4
	v_lshlrev_b64_e32 v[0:1], 2, v[0:1]
	v_add_nc_u32_e32 v5, v49, v5
	v_add_nc_u32_e32 v3, v47, v3
	s_delay_alu instid0(VALU_DEP_4) | instskip(SKIP_1) | instid1(VALU_DEP_2)
	v_lshlrev_b64_e32 v[9:10], 2, v[28:29]
	v_mov_b32_e32 v40, v29
	v_add_co_u32 v9, s0, s8, v9
	s_wait_alu 0xf1ff
	s_delay_alu instid0(VALU_DEP_3) | instskip(SKIP_3) | instid1(VALU_DEP_2)
	v_add_co_ci_u32_e64 v10, s0, s9, v10, s0
	global_load_b32 v11, v[9:10], off offset:5400
	v_lshlrev_b64_e32 v[9:10], 2, v[39:40]
	v_mov_b32_e32 v39, v29
	v_add_co_u32 v9, s0, s8, v9
	s_wait_alu 0xf1ff
	s_delay_alu instid0(VALU_DEP_3) | instskip(SKIP_3) | instid1(VALU_DEP_2)
	v_add_co_ci_u32_e64 v10, s0, s9, v10, s0
	global_load_b32 v12, v[9:10], off offset:5400
	;; [unrolled: 7-line block ×4, first 2 shown]
	v_lshlrev_b64_e32 v[9:10], 2, v[36:37]
	v_mov_b32_e32 v36, v29
	v_add_co_u32 v9, s0, s8, v9
	s_wait_alu 0xf1ff
	s_delay_alu instid0(VALU_DEP_3)
	v_add_co_ci_u32_e64 v10, s0, s9, v10, s0
	global_load_b32 v9, v[9:10], off offset:5400
	v_perm_b32 v10, v8, v7, 0x5040100
	v_lshlrev_b64_e32 v[7:8], 2, v[35:36]
	v_mov_b32_e32 v35, v29
	ds_store_b16 v46, v6 offset:2
	ds_store_b32 v2, v10 offset:5408
	ds_load_b32 v10, v59
	ds_load_b32 v15, v2 offset:5200
	v_add_co_u32 v6, s0, s8, v7
	s_wait_alu 0xf1ff
	v_add_co_ci_u32_e64 v7, s0, s9, v8, s0
	s_add_nc_u64 s[0:1], s[8:9], 0x1518
	s_wait_alu 0xfffe
	v_add_co_u32 v0, s0, s0, v0
	global_load_b32 v8, v[6:7], off offset:5400
	s_wait_alu 0xf1ff
	v_add_co_ci_u32_e64 v1, s0, s1, v1, s0
	s_wait_dscnt 0x0
	v_pk_add_f16 v6, v10, v15 neg_lo:[0,1] neg_hi:[0,1]
	v_pk_add_f16 v7, v10, v15
	s_delay_alu instid0(VALU_DEP_1) | instskip(SKIP_1) | instid1(VALU_DEP_2)
	v_bfi_b32 v10, 0xffff, v6, v7
	v_bfi_b32 v6, 0xffff, v7, v6
	v_pk_mul_f16 v7, v10, 0.5 op_sel_hi:[1,0]
	s_delay_alu instid0(VALU_DEP_2)
	v_pk_mul_f16 v6, v6, 0.5 op_sel_hi:[1,0]
	s_clause 0x1
	global_load_b32 v10, v[0:1], off offset:1456
	global_load_b32 v15, v[0:1], off offset:1872
	s_wait_loadcnt 0x7
	v_pk_fma_f16 v16, v11, v7, v6 op_sel:[1,0,0]
	v_pk_mul_f16 v17, v11, v7 op_sel_hi:[0,1]
	v_pk_fma_f16 v21, v11, v7, v6 op_sel:[1,0,0] neg_lo:[1,0,0] neg_hi:[1,0,0]
	v_pk_fma_f16 v6, v11, v7, v6 op_sel:[1,0,0] neg_lo:[0,0,1] neg_hi:[0,0,1]
	s_delay_alu instid0(VALU_DEP_3) | instskip(SKIP_1) | instid1(VALU_DEP_4)
	v_pk_add_f16 v7, v16, v17 op_sel:[0,1] op_sel_hi:[1,0]
	v_pk_add_f16 v11, v16, v17 op_sel:[0,1] op_sel_hi:[1,0] neg_lo:[0,1] neg_hi:[0,1]
	v_pk_add_f16 v16, v21, v17 op_sel:[0,1] op_sel_hi:[1,0] neg_lo:[0,1] neg_hi:[0,1]
	s_delay_alu instid0(VALU_DEP_4) | instskip(NEXT) | instid1(VALU_DEP_3)
	v_pk_add_f16 v6, v6, v17 op_sel:[0,1] op_sel_hi:[1,0] neg_lo:[0,1] neg_hi:[0,1]
	v_bfi_b32 v7, 0xffff, v7, v11
	s_delay_alu instid0(VALU_DEP_2)
	v_bfi_b32 v6, 0xffff, v16, v6
	ds_store_b32 v59, v7
	ds_store_b32 v2, v6 offset:5200
	ds_load_b32 v6, v43
	ds_load_b32 v7, v2 offset:4992
	s_wait_dscnt 0x0
	v_pk_add_f16 v11, v6, v7 neg_lo:[0,1] neg_hi:[0,1]
	v_pk_add_f16 v6, v6, v7
	s_delay_alu instid0(VALU_DEP_1) | instskip(SKIP_1) | instid1(VALU_DEP_2)
	v_bfi_b32 v7, 0xffff, v11, v6
	v_bfi_b32 v6, 0xffff, v6, v11
	v_pk_mul_f16 v7, v7, 0.5 op_sel_hi:[1,0]
	s_delay_alu instid0(VALU_DEP_2) | instskip(SKIP_1) | instid1(VALU_DEP_2)
	v_pk_mul_f16 v6, v6, 0.5 op_sel_hi:[1,0]
	s_wait_loadcnt 0x6
	v_pk_mul_f16 v16, v12, v7 op_sel_hi:[0,1]
	s_delay_alu instid0(VALU_DEP_2) | instskip(SKIP_2) | instid1(VALU_DEP_3)
	v_pk_fma_f16 v11, v12, v7, v6 op_sel:[1,0,0]
	v_pk_fma_f16 v17, v12, v7, v6 op_sel:[1,0,0] neg_lo:[1,0,0] neg_hi:[1,0,0]
	v_pk_fma_f16 v6, v12, v7, v6 op_sel:[1,0,0] neg_lo:[0,0,1] neg_hi:[0,0,1]
	v_pk_add_f16 v7, v11, v16 op_sel:[0,1] op_sel_hi:[1,0]
	v_pk_add_f16 v11, v11, v16 op_sel:[0,1] op_sel_hi:[1,0] neg_lo:[0,1] neg_hi:[0,1]
	s_delay_alu instid0(VALU_DEP_4) | instskip(NEXT) | instid1(VALU_DEP_4)
	v_pk_add_f16 v12, v17, v16 op_sel:[0,1] op_sel_hi:[1,0] neg_lo:[0,1] neg_hi:[0,1]
	v_pk_add_f16 v6, v6, v16 op_sel:[0,1] op_sel_hi:[1,0] neg_lo:[0,1] neg_hi:[0,1]
	s_delay_alu instid0(VALU_DEP_3) | instskip(NEXT) | instid1(VALU_DEP_2)
	v_bfi_b32 v11, 0xffff, v7, v11
	v_bfi_b32 v12, 0xffff, v12, v6
	v_lshlrev_b64_e32 v[6:7], 2, v[34:35]
	ds_store_b32 v43, v11
	ds_store_b32 v2, v12 offset:4992
	ds_load_b32 v11, v20
	ds_load_b32 v12, v2 offset:4784
	v_mov_b32_e32 v34, v29
	v_add_co_u32 v6, s0, s8, v6
	s_wait_alu 0xf1ff
	v_add_co_ci_u32_e64 v7, s0, s9, v7, s0
	global_load_b32 v16, v[6:7], off offset:5400
	s_wait_dscnt 0x0
	v_pk_add_f16 v6, v11, v12 neg_lo:[0,1] neg_hi:[0,1]
	v_pk_add_f16 v7, v11, v12
	s_delay_alu instid0(VALU_DEP_1) | instskip(SKIP_1) | instid1(VALU_DEP_2)
	v_bfi_b32 v11, 0xffff, v6, v7
	v_bfi_b32 v6, 0xffff, v7, v6
	v_pk_mul_f16 v7, v11, 0.5 op_sel_hi:[1,0]
	s_delay_alu instid0(VALU_DEP_2) | instskip(SKIP_1) | instid1(VALU_DEP_2)
	v_pk_mul_f16 v6, v6, 0.5 op_sel_hi:[1,0]
	s_wait_loadcnt 0x6
	v_pk_mul_f16 v12, v13, v7 op_sel_hi:[0,1]
	s_delay_alu instid0(VALU_DEP_2) | instskip(SKIP_2) | instid1(VALU_DEP_3)
	v_pk_fma_f16 v11, v13, v7, v6 op_sel:[1,0,0]
	v_pk_fma_f16 v17, v13, v7, v6 op_sel:[1,0,0] neg_lo:[1,0,0] neg_hi:[1,0,0]
	v_pk_fma_f16 v6, v13, v7, v6 op_sel:[1,0,0] neg_lo:[0,0,1] neg_hi:[0,0,1]
	v_pk_add_f16 v7, v11, v12 op_sel:[0,1] op_sel_hi:[1,0]
	v_pk_add_f16 v11, v11, v12 op_sel:[0,1] op_sel_hi:[1,0] neg_lo:[0,1] neg_hi:[0,1]
	s_delay_alu instid0(VALU_DEP_4) | instskip(NEXT) | instid1(VALU_DEP_4)
	v_pk_add_f16 v13, v17, v12 op_sel:[0,1] op_sel_hi:[1,0] neg_lo:[0,1] neg_hi:[0,1]
	v_pk_add_f16 v6, v6, v12 op_sel:[0,1] op_sel_hi:[1,0] neg_lo:[0,1] neg_hi:[0,1]
	s_delay_alu instid0(VALU_DEP_3) | instskip(NEXT) | instid1(VALU_DEP_2)
	v_bfi_b32 v7, 0xffff, v7, v11
	v_bfi_b32 v6, 0xffff, v13, v6
	ds_store_b32 v20, v7
	ds_store_b32 v2, v6 offset:4784
	ds_load_b32 v6, v41
	ds_load_b32 v7, v2 offset:4576
	s_wait_dscnt 0x0
	v_pk_add_f16 v11, v6, v7 neg_lo:[0,1] neg_hi:[0,1]
	v_pk_add_f16 v6, v6, v7
	s_delay_alu instid0(VALU_DEP_1) | instskip(SKIP_1) | instid1(VALU_DEP_2)
	v_bfi_b32 v7, 0xffff, v11, v6
	v_bfi_b32 v6, 0xffff, v6, v11
	v_pk_mul_f16 v7, v7, 0.5 op_sel_hi:[1,0]
	s_delay_alu instid0(VALU_DEP_2) | instskip(SKIP_1) | instid1(VALU_DEP_2)
	v_pk_mul_f16 v6, v6, 0.5 op_sel_hi:[1,0]
	s_wait_loadcnt 0x5
	v_pk_mul_f16 v12, v14, v7 op_sel_hi:[0,1]
	s_delay_alu instid0(VALU_DEP_2) | instskip(SKIP_2) | instid1(VALU_DEP_3)
	v_pk_fma_f16 v11, v14, v7, v6 op_sel:[1,0,0]
	v_pk_fma_f16 v13, v14, v7, v6 op_sel:[1,0,0] neg_lo:[1,0,0] neg_hi:[1,0,0]
	v_pk_fma_f16 v6, v14, v7, v6 op_sel:[1,0,0] neg_lo:[0,0,1] neg_hi:[0,0,1]
	v_pk_add_f16 v7, v11, v12 op_sel:[0,1] op_sel_hi:[1,0]
	v_pk_add_f16 v11, v11, v12 op_sel:[0,1] op_sel_hi:[1,0] neg_lo:[0,1] neg_hi:[0,1]
	s_delay_alu instid0(VALU_DEP_4) | instskip(NEXT) | instid1(VALU_DEP_4)
	v_pk_add_f16 v13, v13, v12 op_sel:[0,1] op_sel_hi:[1,0] neg_lo:[0,1] neg_hi:[0,1]
	v_pk_add_f16 v6, v6, v12 op_sel:[0,1] op_sel_hi:[1,0] neg_lo:[0,1] neg_hi:[0,1]
	s_delay_alu instid0(VALU_DEP_3) | instskip(NEXT) | instid1(VALU_DEP_2)
	v_bfi_b32 v11, 0xffff, v7, v11
	v_bfi_b32 v12, 0xffff, v13, v6
	v_lshlrev_b64_e32 v[6:7], 2, v[33:34]
	v_mov_b32_e32 v33, v29
	ds_store_b32 v41, v11
	ds_store_b32 v2, v12 offset:4576
	ds_load_b32 v11, v19
	ds_load_b32 v12, v2 offset:4368
	v_add_co_u32 v6, s0, s8, v6
	s_wait_alu 0xf1ff
	v_add_co_ci_u32_e64 v7, s0, s9, v7, s0
	global_load_b32 v6, v[6:7], off offset:5400
	s_wait_dscnt 0x0
	v_pk_add_f16 v7, v11, v12 neg_lo:[0,1] neg_hi:[0,1]
	v_pk_add_f16 v11, v11, v12
	s_delay_alu instid0(VALU_DEP_1) | instskip(SKIP_1) | instid1(VALU_DEP_2)
	v_bfi_b32 v12, 0xffff, v7, v11
	v_bfi_b32 v7, 0xffff, v11, v7
	v_pk_mul_f16 v11, v12, 0.5 op_sel_hi:[1,0]
	s_delay_alu instid0(VALU_DEP_2) | instskip(SKIP_1) | instid1(VALU_DEP_2)
	v_pk_mul_f16 v7, v7, 0.5 op_sel_hi:[1,0]
	s_wait_loadcnt 0x5
	v_pk_mul_f16 v13, v9, v11 op_sel_hi:[0,1]
	s_delay_alu instid0(VALU_DEP_2) | instskip(SKIP_2) | instid1(VALU_DEP_3)
	v_pk_fma_f16 v12, v9, v11, v7 op_sel:[1,0,0]
	v_pk_fma_f16 v14, v9, v11, v7 op_sel:[1,0,0] neg_lo:[1,0,0] neg_hi:[1,0,0]
	v_pk_fma_f16 v7, v9, v11, v7 op_sel:[1,0,0] neg_lo:[0,0,1] neg_hi:[0,0,1]
	v_pk_add_f16 v9, v12, v13 op_sel:[0,1] op_sel_hi:[1,0]
	v_pk_add_f16 v11, v12, v13 op_sel:[0,1] op_sel_hi:[1,0] neg_lo:[0,1] neg_hi:[0,1]
	s_delay_alu instid0(VALU_DEP_4) | instskip(NEXT) | instid1(VALU_DEP_4)
	v_pk_add_f16 v12, v14, v13 op_sel:[0,1] op_sel_hi:[1,0] neg_lo:[0,1] neg_hi:[0,1]
	v_pk_add_f16 v7, v7, v13 op_sel:[0,1] op_sel_hi:[1,0] neg_lo:[0,1] neg_hi:[0,1]
	s_delay_alu instid0(VALU_DEP_3) | instskip(NEXT) | instid1(VALU_DEP_2)
	v_bfi_b32 v9, 0xffff, v9, v11
	v_bfi_b32 v7, 0xffff, v12, v7
	ds_store_b32 v19, v9
	ds_store_b32 v2, v7 offset:4368
	ds_load_b32 v7, v18
	ds_load_b32 v9, v2 offset:4160
	global_load_b32 v11, v[0:1], off offset:2288
	s_wait_dscnt 0x0
	v_pk_add_f16 v0, v7, v9 neg_lo:[0,1] neg_hi:[0,1]
	v_pk_add_f16 v1, v7, v9
	s_delay_alu instid0(VALU_DEP_1) | instskip(SKIP_1) | instid1(VALU_DEP_2)
	v_bfi_b32 v7, 0xffff, v0, v1
	v_bfi_b32 v0, 0xffff, v1, v0
	v_pk_mul_f16 v1, v7, 0.5 op_sel_hi:[1,0]
	s_delay_alu instid0(VALU_DEP_2) | instskip(SKIP_1) | instid1(VALU_DEP_2)
	v_pk_mul_f16 v0, v0, 0.5 op_sel_hi:[1,0]
	s_wait_loadcnt 0x5
	v_pk_mul_f16 v9, v8, v1 op_sel_hi:[0,1]
	s_delay_alu instid0(VALU_DEP_2) | instskip(SKIP_2) | instid1(VALU_DEP_3)
	v_pk_fma_f16 v7, v8, v1, v0 op_sel:[1,0,0]
	v_pk_fma_f16 v12, v8, v1, v0 op_sel:[1,0,0] neg_lo:[1,0,0] neg_hi:[1,0,0]
	v_pk_fma_f16 v0, v8, v1, v0 op_sel:[1,0,0] neg_lo:[0,0,1] neg_hi:[0,0,1]
	v_pk_add_f16 v1, v7, v9 op_sel:[0,1] op_sel_hi:[1,0]
	v_pk_add_f16 v7, v7, v9 op_sel:[0,1] op_sel_hi:[1,0] neg_lo:[0,1] neg_hi:[0,1]
	s_delay_alu instid0(VALU_DEP_4) | instskip(NEXT) | instid1(VALU_DEP_4)
	v_pk_add_f16 v8, v12, v9 op_sel:[0,1] op_sel_hi:[1,0] neg_lo:[0,1] neg_hi:[0,1]
	v_pk_add_f16 v0, v0, v9 op_sel:[0,1] op_sel_hi:[1,0] neg_lo:[0,1] neg_hi:[0,1]
	s_delay_alu instid0(VALU_DEP_3) | instskip(NEXT) | instid1(VALU_DEP_2)
	v_bfi_b32 v7, 0xffff, v1, v7
	v_bfi_b32 v8, 0xffff, v8, v0
	v_lshlrev_b64_e32 v[0:1], 2, v[32:33]
	ds_store_b32 v18, v7
	ds_store_b32 v2, v8 offset:4160
	ds_load_b32 v7, v46 offset:1456
	ds_load_b32 v8, v2 offset:3952
	v_add_co_u32 v0, s0, s8, v0
	s_wait_alu 0xf1ff
	v_add_co_ci_u32_e64 v1, s0, s9, v1, s0
	global_load_b32 v0, v[0:1], off offset:5400
	s_wait_dscnt 0x0
	v_pk_add_f16 v1, v7, v8 neg_lo:[0,1] neg_hi:[0,1]
	v_pk_add_f16 v7, v7, v8
	s_delay_alu instid0(VALU_DEP_1) | instskip(SKIP_1) | instid1(VALU_DEP_2)
	v_bfi_b32 v8, 0xffff, v1, v7
	v_bfi_b32 v1, 0xffff, v7, v1
	v_pk_mul_f16 v7, v8, 0.5 op_sel_hi:[1,0]
	s_delay_alu instid0(VALU_DEP_2) | instskip(SKIP_1) | instid1(VALU_DEP_2)
	v_pk_mul_f16 v1, v1, 0.5 op_sel_hi:[1,0]
	s_wait_loadcnt 0x5
	v_pk_mul_f16 v9, v10, v7 op_sel_hi:[0,1]
	s_delay_alu instid0(VALU_DEP_2) | instskip(SKIP_2) | instid1(VALU_DEP_3)
	v_pk_fma_f16 v8, v10, v7, v1 op_sel:[1,0,0]
	v_pk_fma_f16 v12, v10, v7, v1 op_sel:[1,0,0] neg_lo:[1,0,0] neg_hi:[1,0,0]
	v_pk_fma_f16 v1, v10, v7, v1 op_sel:[1,0,0] neg_lo:[0,0,1] neg_hi:[0,0,1]
	v_pk_add_f16 v7, v8, v9 op_sel:[0,1] op_sel_hi:[1,0]
	v_pk_add_f16 v8, v8, v9 op_sel:[0,1] op_sel_hi:[1,0] neg_lo:[0,1] neg_hi:[0,1]
	s_delay_alu instid0(VALU_DEP_4) | instskip(NEXT) | instid1(VALU_DEP_4)
	v_pk_add_f16 v10, v12, v9 op_sel:[0,1] op_sel_hi:[1,0] neg_lo:[0,1] neg_hi:[0,1]
	v_pk_add_f16 v1, v1, v9 op_sel:[0,1] op_sel_hi:[1,0] neg_lo:[0,1] neg_hi:[0,1]
	s_delay_alu instid0(VALU_DEP_3) | instskip(NEXT) | instid1(VALU_DEP_2)
	v_bfi_b32 v7, 0xffff, v7, v8
	v_bfi_b32 v1, 0xffff, v10, v1
	ds_store_b32 v46, v7 offset:1456
	ds_store_b32 v2, v1 offset:3952
	ds_load_b32 v1, v5
	ds_load_b32 v7, v2 offset:3744
	s_wait_dscnt 0x0
	v_pk_add_f16 v8, v1, v7 neg_lo:[0,1] neg_hi:[0,1]
	v_pk_add_f16 v1, v1, v7
	s_delay_alu instid0(VALU_DEP_1) | instskip(SKIP_1) | instid1(VALU_DEP_2)
	v_bfi_b32 v7, 0xffff, v8, v1
	v_bfi_b32 v1, 0xffff, v1, v8
	v_pk_mul_f16 v7, v7, 0.5 op_sel_hi:[1,0]
	s_delay_alu instid0(VALU_DEP_2) | instskip(SKIP_1) | instid1(VALU_DEP_1)
	v_pk_mul_f16 v1, v1, 0.5 op_sel_hi:[1,0]
	s_wait_loadcnt 0x3
	v_pk_fma_f16 v8, v16, v7, v1 op_sel:[1,0,0]
	v_pk_mul_f16 v9, v16, v7 op_sel_hi:[0,1]
	v_pk_fma_f16 v10, v16, v7, v1 op_sel:[1,0,0] neg_lo:[1,0,0] neg_hi:[1,0,0]
	v_pk_fma_f16 v1, v16, v7, v1 op_sel:[1,0,0] neg_lo:[0,0,1] neg_hi:[0,0,1]
	s_delay_alu instid0(VALU_DEP_3) | instskip(SKIP_1) | instid1(VALU_DEP_4)
	v_pk_add_f16 v7, v8, v9 op_sel:[0,1] op_sel_hi:[1,0]
	v_pk_add_f16 v8, v8, v9 op_sel:[0,1] op_sel_hi:[1,0] neg_lo:[0,1] neg_hi:[0,1]
	v_pk_add_f16 v10, v10, v9 op_sel:[0,1] op_sel_hi:[1,0] neg_lo:[0,1] neg_hi:[0,1]
	s_delay_alu instid0(VALU_DEP_4) | instskip(NEXT) | instid1(VALU_DEP_3)
	v_pk_add_f16 v1, v1, v9 op_sel:[0,1] op_sel_hi:[1,0] neg_lo:[0,1] neg_hi:[0,1]
	v_bfi_b32 v7, 0xffff, v7, v8
	s_delay_alu instid0(VALU_DEP_2)
	v_bfi_b32 v1, 0xffff, v10, v1
	ds_store_b32 v5, v7
	ds_store_b32 v2, v1 offset:3744
	ds_load_b32 v1, v46 offset:1872
	ds_load_b32 v5, v2 offset:3536
	s_wait_dscnt 0x0
	v_pk_add_f16 v7, v1, v5 neg_lo:[0,1] neg_hi:[0,1]
	v_pk_add_f16 v1, v1, v5
	s_delay_alu instid0(VALU_DEP_1) | instskip(SKIP_1) | instid1(VALU_DEP_2)
	v_bfi_b32 v5, 0xffff, v7, v1
	v_bfi_b32 v1, 0xffff, v1, v7
	v_pk_mul_f16 v5, v5, 0.5 op_sel_hi:[1,0]
	s_delay_alu instid0(VALU_DEP_2) | instskip(NEXT) | instid1(VALU_DEP_2)
	v_pk_mul_f16 v1, v1, 0.5 op_sel_hi:[1,0]
	v_pk_mul_f16 v8, v15, v5 op_sel_hi:[0,1]
	s_delay_alu instid0(VALU_DEP_2) | instskip(SKIP_2) | instid1(VALU_DEP_3)
	v_pk_fma_f16 v7, v15, v5, v1 op_sel:[1,0,0]
	v_pk_fma_f16 v9, v15, v5, v1 op_sel:[1,0,0] neg_lo:[1,0,0] neg_hi:[1,0,0]
	v_pk_fma_f16 v1, v15, v5, v1 op_sel:[1,0,0] neg_lo:[0,0,1] neg_hi:[0,0,1]
	v_pk_add_f16 v5, v7, v8 op_sel:[0,1] op_sel_hi:[1,0]
	v_pk_add_f16 v7, v7, v8 op_sel:[0,1] op_sel_hi:[1,0] neg_lo:[0,1] neg_hi:[0,1]
	s_delay_alu instid0(VALU_DEP_4) | instskip(NEXT) | instid1(VALU_DEP_4)
	v_pk_add_f16 v9, v9, v8 op_sel:[0,1] op_sel_hi:[1,0] neg_lo:[0,1] neg_hi:[0,1]
	v_pk_add_f16 v1, v1, v8 op_sel:[0,1] op_sel_hi:[1,0] neg_lo:[0,1] neg_hi:[0,1]
	s_delay_alu instid0(VALU_DEP_3) | instskip(NEXT) | instid1(VALU_DEP_2)
	v_bfi_b32 v5, 0xffff, v5, v7
	v_bfi_b32 v1, 0xffff, v9, v1
	ds_store_b32 v46, v5 offset:1872
	ds_store_b32 v2, v1 offset:3536
	ds_load_b32 v1, v4
	ds_load_b32 v5, v2 offset:3328
	s_wait_dscnt 0x0
	v_pk_add_f16 v7, v1, v5 neg_lo:[0,1] neg_hi:[0,1]
	v_pk_add_f16 v1, v1, v5
	s_delay_alu instid0(VALU_DEP_1) | instskip(SKIP_1) | instid1(VALU_DEP_2)
	v_bfi_b32 v5, 0xffff, v7, v1
	v_bfi_b32 v1, 0xffff, v1, v7
	v_pk_mul_f16 v5, v5, 0.5 op_sel_hi:[1,0]
	s_delay_alu instid0(VALU_DEP_2) | instskip(SKIP_1) | instid1(VALU_DEP_2)
	v_pk_mul_f16 v1, v1, 0.5 op_sel_hi:[1,0]
	s_wait_loadcnt 0x2
	v_pk_mul_f16 v8, v6, v5 op_sel_hi:[0,1]
	s_delay_alu instid0(VALU_DEP_2) | instskip(SKIP_2) | instid1(VALU_DEP_3)
	v_pk_fma_f16 v7, v6, v5, v1 op_sel:[1,0,0]
	v_pk_fma_f16 v9, v6, v5, v1 op_sel:[1,0,0] neg_lo:[1,0,0] neg_hi:[1,0,0]
	v_pk_fma_f16 v1, v6, v5, v1 op_sel:[1,0,0] neg_lo:[0,0,1] neg_hi:[0,0,1]
	v_pk_add_f16 v5, v7, v8 op_sel:[0,1] op_sel_hi:[1,0]
	v_pk_add_f16 v6, v7, v8 op_sel:[0,1] op_sel_hi:[1,0] neg_lo:[0,1] neg_hi:[0,1]
	s_delay_alu instid0(VALU_DEP_4) | instskip(NEXT) | instid1(VALU_DEP_4)
	v_pk_add_f16 v7, v9, v8 op_sel:[0,1] op_sel_hi:[1,0] neg_lo:[0,1] neg_hi:[0,1]
	v_pk_add_f16 v1, v1, v8 op_sel:[0,1] op_sel_hi:[1,0] neg_lo:[0,1] neg_hi:[0,1]
	s_delay_alu instid0(VALU_DEP_3) | instskip(NEXT) | instid1(VALU_DEP_2)
	v_bfi_b32 v5, 0xffff, v5, v6
	v_bfi_b32 v1, 0xffff, v7, v1
	ds_store_b32 v4, v5
	ds_store_b32 v2, v1 offset:3328
	ds_load_b32 v1, v46 offset:2288
	ds_load_b32 v4, v2 offset:3120
	s_wait_dscnt 0x0
	v_pk_add_f16 v5, v1, v4 neg_lo:[0,1] neg_hi:[0,1]
	v_pk_add_f16 v1, v1, v4
	s_delay_alu instid0(VALU_DEP_1) | instskip(SKIP_1) | instid1(VALU_DEP_2)
	v_bfi_b32 v4, 0xffff, v5, v1
	v_bfi_b32 v1, 0xffff, v1, v5
	v_pk_mul_f16 v4, v4, 0.5 op_sel_hi:[1,0]
	s_delay_alu instid0(VALU_DEP_2) | instskip(SKIP_1) | instid1(VALU_DEP_2)
	v_pk_mul_f16 v1, v1, 0.5 op_sel_hi:[1,0]
	s_wait_loadcnt 0x1
	v_pk_mul_f16 v6, v11, v4 op_sel_hi:[0,1]
	s_delay_alu instid0(VALU_DEP_2) | instskip(SKIP_2) | instid1(VALU_DEP_3)
	v_pk_fma_f16 v5, v11, v4, v1 op_sel:[1,0,0]
	v_pk_fma_f16 v7, v11, v4, v1 op_sel:[1,0,0] neg_lo:[1,0,0] neg_hi:[1,0,0]
	v_pk_fma_f16 v1, v11, v4, v1 op_sel:[1,0,0] neg_lo:[0,0,1] neg_hi:[0,0,1]
	v_pk_add_f16 v4, v5, v6 op_sel:[0,1] op_sel_hi:[1,0]
	v_pk_add_f16 v5, v5, v6 op_sel:[0,1] op_sel_hi:[1,0] neg_lo:[0,1] neg_hi:[0,1]
	s_delay_alu instid0(VALU_DEP_4) | instskip(NEXT) | instid1(VALU_DEP_4)
	v_pk_add_f16 v7, v7, v6 op_sel:[0,1] op_sel_hi:[1,0] neg_lo:[0,1] neg_hi:[0,1]
	v_pk_add_f16 v1, v1, v6 op_sel:[0,1] op_sel_hi:[1,0] neg_lo:[0,1] neg_hi:[0,1]
	s_delay_alu instid0(VALU_DEP_3) | instskip(NEXT) | instid1(VALU_DEP_2)
	v_bfi_b32 v4, 0xffff, v4, v5
	v_bfi_b32 v1, 0xffff, v7, v1
	ds_store_b32 v46, v4 offset:2288
	ds_store_b32 v2, v1 offset:3120
	ds_load_b32 v1, v3
	ds_load_b32 v4, v2 offset:2912
	s_wait_dscnt 0x0
	v_pk_add_f16 v5, v1, v4 neg_lo:[0,1] neg_hi:[0,1]
	v_pk_add_f16 v1, v1, v4
	s_delay_alu instid0(VALU_DEP_1) | instskip(SKIP_1) | instid1(VALU_DEP_2)
	v_bfi_b32 v4, 0xffff, v5, v1
	v_bfi_b32 v1, 0xffff, v1, v5
	v_pk_mul_f16 v4, v4, 0.5 op_sel_hi:[1,0]
	s_delay_alu instid0(VALU_DEP_2) | instskip(SKIP_1) | instid1(VALU_DEP_2)
	v_pk_mul_f16 v1, v1, 0.5 op_sel_hi:[1,0]
	s_wait_loadcnt 0x0
	v_pk_mul_f16 v6, v0, v4 op_sel_hi:[0,1]
	s_delay_alu instid0(VALU_DEP_2) | instskip(SKIP_2) | instid1(VALU_DEP_3)
	v_pk_fma_f16 v5, v0, v4, v1 op_sel:[1,0,0]
	v_pk_fma_f16 v7, v0, v4, v1 op_sel:[1,0,0] neg_lo:[1,0,0] neg_hi:[1,0,0]
	v_pk_fma_f16 v0, v0, v4, v1 op_sel:[1,0,0] neg_lo:[0,0,1] neg_hi:[0,0,1]
	v_pk_add_f16 v1, v5, v6 op_sel:[0,1] op_sel_hi:[1,0]
	v_pk_add_f16 v4, v5, v6 op_sel:[0,1] op_sel_hi:[1,0] neg_lo:[0,1] neg_hi:[0,1]
	s_delay_alu instid0(VALU_DEP_4) | instskip(NEXT) | instid1(VALU_DEP_4)
	v_pk_add_f16 v5, v7, v6 op_sel:[0,1] op_sel_hi:[1,0] neg_lo:[0,1] neg_hi:[0,1]
	v_pk_add_f16 v0, v0, v6 op_sel:[0,1] op_sel_hi:[1,0] neg_lo:[0,1] neg_hi:[0,1]
	s_delay_alu instid0(VALU_DEP_3) | instskip(NEXT) | instid1(VALU_DEP_2)
	v_bfi_b32 v1, 0xffff, v1, v4
	v_bfi_b32 v0, 0xffff, v5, v0
	ds_store_b32 v3, v1
	ds_store_b32 v2, v0 offset:2912
	global_wb scope:SCOPE_SE
	s_wait_dscnt 0x0
	s_barrier_signal -1
	s_barrier_wait -1
	global_inv scope:SCOPE_SE
	s_and_saveexec_b32 s0, vcc_lo
	s_cbranch_execz .LBB0_24
; %bb.22:
	v_mul_lo_u32 v2, s3, v30
	v_mul_lo_u32 v3, s2, v31
	v_mad_co_u64_u32 v[0:1], null, s2, v30, 0
	v_dual_mov_b32 v25, v29 :: v_dual_add_nc_u32 v28, 52, v24
	v_lshl_add_u32 v32, v24, 2, 0
	s_delay_alu instid0(VALU_DEP_2) | instskip(NEXT) | instid1(VALU_DEP_4)
	v_lshlrev_b64_e32 v[6:7], 2, v[24:25]
	v_add3_u32 v1, v1, v3, v2
	s_delay_alu instid0(VALU_DEP_4)
	v_lshlrev_b64_e32 v[8:9], 2, v[28:29]
	v_add_nc_u32_e32 v28, 0x68, v24
	v_lshlrev_b64_e32 v[2:3], 2, v[26:27]
	v_add_nc_u32_e32 v16, 0x200, v32
	v_lshlrev_b64_e32 v[0:1], 2, v[0:1]
	ds_load_2addr_b32 v[4:5], v32 offset1:52
	v_lshlrev_b64_e32 v[10:11], 2, v[28:29]
	v_add_nc_u32_e32 v28, 0x9c, v24
	v_add_nc_u32_e32 v27, 0x400, v32
	ds_load_2addr_b32 v[16:17], v16 offset0:80 offset1:132
	v_add_co_u32 v0, vcc_lo, s6, v0
	s_wait_alu 0xfffd
	v_add_co_ci_u32_e32 v1, vcc_lo, s7, v1, vcc_lo
	v_lshlrev_b64_e32 v[12:13], 2, v[28:29]
	v_add_nc_u32_e32 v28, 0xd0, v24
	v_add_co_u32 v0, vcc_lo, v0, v2
	s_wait_alu 0xfffd
	v_add_co_ci_u32_e32 v1, vcc_lo, v1, v3, vcc_lo
	s_delay_alu instid0(VALU_DEP_3)
	v_lshlrev_b64_e32 v[14:15], 2, v[28:29]
	v_add_nc_u32_e32 v28, 0x104, v24
	v_add_co_u32 v2, vcc_lo, v0, v6
	s_wait_alu 0xfffd
	v_add_co_ci_u32_e32 v3, vcc_lo, v1, v7, vcc_lo
	v_add_co_u32 v6, vcc_lo, v0, v8
	v_lshlrev_b64_e32 v[18:19], 2, v[28:29]
	v_add_nc_u32_e32 v28, 0x138, v24
	s_wait_alu 0xfffd
	v_add_co_ci_u32_e32 v7, vcc_lo, v1, v9, vcc_lo
	ds_load_2addr_b32 v[8:9], v32 offset0:104 offset1:156
	v_add_co_u32 v10, vcc_lo, v0, v10
	s_wait_alu 0xfffd
	v_add_co_ci_u32_e32 v11, vcc_lo, v1, v11, vcc_lo
	v_lshlrev_b64_e32 v[22:23], 2, v[28:29]
	v_add_nc_u32_e32 v28, 0x16c, v24
	v_add_co_u32 v12, vcc_lo, v0, v12
	ds_load_2addr_b32 v[20:21], v27 offset0:56 offset1:108
	s_wait_alu 0xfffd
	v_add_co_ci_u32_e32 v13, vcc_lo, v1, v13, vcc_lo
	v_add_co_u32 v14, vcc_lo, v0, v14
	v_lshlrev_b64_e32 v[25:26], 2, v[28:29]
	v_add_nc_u32_e32 v28, 0x1a0, v24
	s_wait_alu 0xfffd
	v_add_co_ci_u32_e32 v15, vcc_lo, v1, v15, vcc_lo
	v_add_co_u32 v18, vcc_lo, v0, v18
	s_wait_alu 0xfffd
	v_add_co_ci_u32_e32 v19, vcc_lo, v1, v19, vcc_lo
	v_add_co_u32 v22, vcc_lo, v0, v22
	v_lshlrev_b64_e32 v[30:31], 2, v[28:29]
	v_add_nc_u32_e32 v28, 0x1d4, v24
	s_wait_alu 0xfffd
	v_add_co_ci_u32_e32 v23, vcc_lo, v1, v23, vcc_lo
	v_add_co_u32 v25, vcc_lo, v0, v25
	s_wait_alu 0xfffd
	v_add_co_ci_u32_e32 v26, vcc_lo, v1, v26, vcc_lo
	s_wait_dscnt 0x3
	s_clause 0x1
	global_store_b32 v[2:3], v4, off
	global_store_b32 v[6:7], v5, off
	s_wait_dscnt 0x1
	s_clause 0x3
	global_store_b32 v[10:11], v8, off
	global_store_b32 v[12:13], v9, off
	global_store_b32 v[14:15], v16, off
	global_store_b32 v[18:19], v17, off
	s_wait_dscnt 0x0
	s_clause 0x1
	global_store_b32 v[22:23], v20, off
	global_store_b32 v[25:26], v21, off
	v_lshlrev_b64_e32 v[4:5], 2, v[28:29]
	v_add_nc_u32_e32 v28, 0x208, v24
	v_add_co_u32 v6, vcc_lo, v0, v30
	v_add_nc_u32_e32 v16, 0x800, v32
	s_wait_alu 0xfffd
	v_add_co_ci_u32_e32 v7, vcc_lo, v1, v31, vcc_lo
	v_lshlrev_b64_e32 v[8:9], 2, v[28:29]
	v_add_nc_u32_e32 v28, 0x23c, v24
	ds_load_2addr_b32 v[2:3], v27 offset0:160 offset1:212
	v_add_co_u32 v4, vcc_lo, v0, v4
	v_add_nc_u32_e32 v22, 0xa00, v32
	v_lshlrev_b64_e32 v[12:13], 2, v[28:29]
	v_add_nc_u32_e32 v28, 0x270, v24
	s_wait_alu 0xfffd
	v_add_co_ci_u32_e32 v5, vcc_lo, v1, v5, vcc_lo
	ds_load_2addr_b32 v[10:11], v16 offset0:8 offset1:60
	v_add_co_u32 v8, vcc_lo, v0, v8
	v_lshlrev_b64_e32 v[14:15], 2, v[28:29]
	v_add_nc_u32_e32 v28, 0x2a4, v24
	ds_load_2addr_b32 v[16:17], v16 offset0:112 offset1:164
	s_wait_alu 0xfffd
	v_add_co_ci_u32_e32 v9, vcc_lo, v1, v9, vcc_lo
	v_add_co_u32 v12, vcc_lo, v0, v12
	v_lshlrev_b64_e32 v[18:19], 2, v[28:29]
	v_add_nc_u32_e32 v28, 0x2d8, v24
	ds_load_2addr_b32 v[22:23], v22 offset0:88 offset1:140
	s_wait_alu 0xfffd
	v_add_co_ci_u32_e32 v13, vcc_lo, v1, v13, vcc_lo
	v_add_co_u32 v14, vcc_lo, v0, v14
	v_lshlrev_b64_e32 v[20:21], 2, v[28:29]
	v_add_nc_u32_e32 v28, 0x30c, v24
	s_wait_alu 0xfffd
	v_add_co_ci_u32_e32 v15, vcc_lo, v1, v15, vcc_lo
	v_add_co_u32 v18, vcc_lo, v0, v18
	s_delay_alu instid0(VALU_DEP_3) | instskip(SKIP_4) | instid1(VALU_DEP_3)
	v_lshlrev_b64_e32 v[25:26], 2, v[28:29]
	v_add_nc_u32_e32 v28, 0x340, v24
	s_wait_alu 0xfffd
	v_add_co_ci_u32_e32 v19, vcc_lo, v1, v19, vcc_lo
	v_add_co_u32 v20, vcc_lo, v0, v20
	v_lshlrev_b64_e32 v[30:31], 2, v[28:29]
	v_add_nc_u32_e32 v28, 0x374, v24
	s_wait_alu 0xfffd
	v_add_co_ci_u32_e32 v21, vcc_lo, v1, v21, vcc_lo
	v_add_co_u32 v25, vcc_lo, v0, v25
	s_wait_alu 0xfffd
	v_add_co_ci_u32_e32 v26, vcc_lo, v1, v26, vcc_lo
	s_wait_dscnt 0x3
	s_clause 0x1
	global_store_b32 v[6:7], v2, off
	global_store_b32 v[4:5], v3, off
	s_wait_dscnt 0x2
	s_clause 0x1
	global_store_b32 v[8:9], v10, off
	global_store_b32 v[12:13], v11, off
	;; [unrolled: 4-line block ×4, first 2 shown]
	v_lshlrev_b64_e32 v[4:5], 2, v[28:29]
	v_add_nc_u32_e32 v28, 0x3a8, v24
	v_add_co_u32 v6, vcc_lo, v0, v30
	s_wait_alu 0xfffd
	v_add_co_ci_u32_e32 v7, vcc_lo, v1, v31, vcc_lo
	s_delay_alu instid0(VALU_DEP_3) | instskip(SKIP_4) | instid1(VALU_DEP_3)
	v_lshlrev_b64_e32 v[8:9], 2, v[28:29]
	v_add_nc_u32_e32 v28, 0x3dc, v24
	v_add_co_u32 v4, vcc_lo, v0, v4
	s_wait_alu 0xfffd
	v_add_co_ci_u32_e32 v5, vcc_lo, v1, v5, vcc_lo
	v_lshlrev_b64_e32 v[12:13], 2, v[28:29]
	v_add_nc_u32_e32 v28, 0x410, v24
	v_add_co_u32 v8, vcc_lo, v0, v8
	s_wait_alu 0xfffd
	v_add_co_ci_u32_e32 v9, vcc_lo, v1, v9, vcc_lo
	s_delay_alu instid0(VALU_DEP_3)
	v_lshlrev_b64_e32 v[14:15], 2, v[28:29]
	v_add_nc_u32_e32 v28, 0x444, v24
	v_add_co_u32 v12, vcc_lo, v0, v12
	v_add_nc_u32_e32 v27, 0xc00, v32
	s_wait_alu 0xfffd
	v_add_co_ci_u32_e32 v13, vcc_lo, v1, v13, vcc_lo
	v_lshlrev_b64_e32 v[18:19], 2, v[28:29]
	v_add_nc_u32_e32 v28, 0x478, v24
	v_add_co_u32 v14, vcc_lo, v0, v14
	v_add_nc_u32_e32 v22, 0x1000, v32
	s_wait_alu 0xfffd
	v_add_co_ci_u32_e32 v15, vcc_lo, v1, v15, vcc_lo
	v_lshlrev_b64_e32 v[20:21], 2, v[28:29]
	v_add_nc_u32_e32 v28, 0x4ac, v24
	ds_load_2addr_b32 v[2:3], v27 offset0:64 offset1:116
	v_add_co_u32 v18, vcc_lo, v0, v18
	ds_load_2addr_b32 v[10:11], v27 offset0:168 offset1:220
	v_lshlrev_b64_e32 v[25:26], 2, v[28:29]
	v_add_nc_u32_e32 v28, 0x4e0, v24
	v_add_nc_u32_e32 v27, 0x1200, v32
	s_wait_alu 0xfffd
	v_add_co_ci_u32_e32 v19, vcc_lo, v1, v19, vcc_lo
	v_add_co_u32 v20, vcc_lo, v0, v20
	v_lshlrev_b64_e32 v[32:33], 2, v[28:29]
	v_add_nc_u32_e32 v28, 0x514, v24
	ds_load_2addr_b32 v[16:17], v22 offset0:16 offset1:68
	s_wait_alu 0xfffd
	v_add_co_ci_u32_e32 v21, vcc_lo, v1, v21, vcc_lo
	ds_load_2addr_b32 v[22:23], v22 offset0:120 offset1:172
	ds_load_2addr_b32 v[30:31], v27 offset0:96 offset1:148
	v_add_co_u32 v25, vcc_lo, v0, v25
	v_lshlrev_b64_e32 v[27:28], 2, v[28:29]
	s_wait_alu 0xfffd
	v_add_co_ci_u32_e32 v26, vcc_lo, v1, v26, vcc_lo
	v_add_co_u32 v32, vcc_lo, v0, v32
	s_wait_alu 0xfffd
	v_add_co_ci_u32_e32 v33, vcc_lo, v1, v33, vcc_lo
	v_add_co_u32 v27, vcc_lo, v0, v27
	s_wait_alu 0xfffd
	v_add_co_ci_u32_e32 v28, vcc_lo, v1, v28, vcc_lo
	v_cmp_eq_u32_e32 vcc_lo, 51, v24
	s_wait_dscnt 0x4
	s_clause 0x1
	global_store_b32 v[6:7], v2, off
	global_store_b32 v[4:5], v3, off
	s_wait_dscnt 0x3
	s_clause 0x1
	global_store_b32 v[8:9], v10, off
	global_store_b32 v[12:13], v11, off
	;; [unrolled: 4-line block ×5, first 2 shown]
	s_and_b32 exec_lo, exec_lo, vcc_lo
	s_cbranch_execz .LBB0_24
; %bb.23:
	v_mov_b32_e32 v2, 0
	ds_load_b32 v2, v2 offset:5408
	s_wait_dscnt 0x0
	global_store_b32 v[0:1], v2, off offset:5408
.LBB0_24:
	s_nop 0
	s_sendmsg sendmsg(MSG_DEALLOC_VGPRS)
	s_endpgm
	.section	.rodata,"a",@progbits
	.p2align	6, 0x0
	.amdhsa_kernel fft_rtc_fwd_len1352_factors_2_13_13_4_wgs_52_tpt_52_halfLds_half_op_CI_CI_unitstride_sbrr_R2C_dirReg
		.amdhsa_group_segment_fixed_size 0
		.amdhsa_private_segment_fixed_size 0
		.amdhsa_kernarg_size 104
		.amdhsa_user_sgpr_count 2
		.amdhsa_user_sgpr_dispatch_ptr 0
		.amdhsa_user_sgpr_queue_ptr 0
		.amdhsa_user_sgpr_kernarg_segment_ptr 1
		.amdhsa_user_sgpr_dispatch_id 0
		.amdhsa_user_sgpr_private_segment_size 0
		.amdhsa_wavefront_size32 1
		.amdhsa_uses_dynamic_stack 0
		.amdhsa_enable_private_segment 0
		.amdhsa_system_sgpr_workgroup_id_x 1
		.amdhsa_system_sgpr_workgroup_id_y 0
		.amdhsa_system_sgpr_workgroup_id_z 0
		.amdhsa_system_sgpr_workgroup_info 0
		.amdhsa_system_vgpr_workitem_id 0
		.amdhsa_next_free_vgpr 138
		.amdhsa_next_free_sgpr 39
		.amdhsa_reserve_vcc 1
		.amdhsa_float_round_mode_32 0
		.amdhsa_float_round_mode_16_64 0
		.amdhsa_float_denorm_mode_32 3
		.amdhsa_float_denorm_mode_16_64 3
		.amdhsa_fp16_overflow 0
		.amdhsa_workgroup_processor_mode 1
		.amdhsa_memory_ordered 1
		.amdhsa_forward_progress 0
		.amdhsa_round_robin_scheduling 0
		.amdhsa_exception_fp_ieee_invalid_op 0
		.amdhsa_exception_fp_denorm_src 0
		.amdhsa_exception_fp_ieee_div_zero 0
		.amdhsa_exception_fp_ieee_overflow 0
		.amdhsa_exception_fp_ieee_underflow 0
		.amdhsa_exception_fp_ieee_inexact 0
		.amdhsa_exception_int_div_zero 0
	.end_amdhsa_kernel
	.text
.Lfunc_end0:
	.size	fft_rtc_fwd_len1352_factors_2_13_13_4_wgs_52_tpt_52_halfLds_half_op_CI_CI_unitstride_sbrr_R2C_dirReg, .Lfunc_end0-fft_rtc_fwd_len1352_factors_2_13_13_4_wgs_52_tpt_52_halfLds_half_op_CI_CI_unitstride_sbrr_R2C_dirReg
                                        ; -- End function
	.section	.AMDGPU.csdata,"",@progbits
; Kernel info:
; codeLenInByte = 24348
; NumSgprs: 41
; NumVgprs: 138
; ScratchSize: 0
; MemoryBound: 0
; FloatMode: 240
; IeeeMode: 1
; LDSByteSize: 0 bytes/workgroup (compile time only)
; SGPRBlocks: 5
; VGPRBlocks: 17
; NumSGPRsForWavesPerEU: 41
; NumVGPRsForWavesPerEU: 138
; Occupancy: 10
; WaveLimiterHint : 1
; COMPUTE_PGM_RSRC2:SCRATCH_EN: 0
; COMPUTE_PGM_RSRC2:USER_SGPR: 2
; COMPUTE_PGM_RSRC2:TRAP_HANDLER: 0
; COMPUTE_PGM_RSRC2:TGID_X_EN: 1
; COMPUTE_PGM_RSRC2:TGID_Y_EN: 0
; COMPUTE_PGM_RSRC2:TGID_Z_EN: 0
; COMPUTE_PGM_RSRC2:TIDIG_COMP_CNT: 0
	.text
	.p2alignl 7, 3214868480
	.fill 96, 4, 3214868480
	.type	__hip_cuid_b2d13e20943c079e,@object ; @__hip_cuid_b2d13e20943c079e
	.section	.bss,"aw",@nobits
	.globl	__hip_cuid_b2d13e20943c079e
__hip_cuid_b2d13e20943c079e:
	.byte	0                               ; 0x0
	.size	__hip_cuid_b2d13e20943c079e, 1

	.ident	"AMD clang version 19.0.0git (https://github.com/RadeonOpenCompute/llvm-project roc-6.4.0 25133 c7fe45cf4b819c5991fe208aaa96edf142730f1d)"
	.section	".note.GNU-stack","",@progbits
	.addrsig
	.addrsig_sym __hip_cuid_b2d13e20943c079e
	.amdgpu_metadata
---
amdhsa.kernels:
  - .args:
      - .actual_access:  read_only
        .address_space:  global
        .offset:         0
        .size:           8
        .value_kind:     global_buffer
      - .offset:         8
        .size:           8
        .value_kind:     by_value
      - .actual_access:  read_only
        .address_space:  global
        .offset:         16
        .size:           8
        .value_kind:     global_buffer
      - .actual_access:  read_only
        .address_space:  global
        .offset:         24
        .size:           8
        .value_kind:     global_buffer
      - .actual_access:  read_only
        .address_space:  global
        .offset:         32
        .size:           8
        .value_kind:     global_buffer
      - .offset:         40
        .size:           8
        .value_kind:     by_value
      - .actual_access:  read_only
        .address_space:  global
        .offset:         48
        .size:           8
        .value_kind:     global_buffer
      - .actual_access:  read_only
        .address_space:  global
        .offset:         56
        .size:           8
        .value_kind:     global_buffer
      - .offset:         64
        .size:           4
        .value_kind:     by_value
      - .actual_access:  read_only
        .address_space:  global
        .offset:         72
        .size:           8
        .value_kind:     global_buffer
      - .actual_access:  read_only
        .address_space:  global
        .offset:         80
        .size:           8
        .value_kind:     global_buffer
      - .actual_access:  read_only
        .address_space:  global
        .offset:         88
        .size:           8
        .value_kind:     global_buffer
      - .actual_access:  write_only
        .address_space:  global
        .offset:         96
        .size:           8
        .value_kind:     global_buffer
    .group_segment_fixed_size: 0
    .kernarg_segment_align: 8
    .kernarg_segment_size: 104
    .language:       OpenCL C
    .language_version:
      - 2
      - 0
    .max_flat_workgroup_size: 52
    .name:           fft_rtc_fwd_len1352_factors_2_13_13_4_wgs_52_tpt_52_halfLds_half_op_CI_CI_unitstride_sbrr_R2C_dirReg
    .private_segment_fixed_size: 0
    .sgpr_count:     41
    .sgpr_spill_count: 0
    .symbol:         fft_rtc_fwd_len1352_factors_2_13_13_4_wgs_52_tpt_52_halfLds_half_op_CI_CI_unitstride_sbrr_R2C_dirReg.kd
    .uniform_work_group_size: 1
    .uses_dynamic_stack: false
    .vgpr_count:     138
    .vgpr_spill_count: 0
    .wavefront_size: 32
    .workgroup_processor_mode: 1
amdhsa.target:   amdgcn-amd-amdhsa--gfx1201
amdhsa.version:
  - 1
  - 2
...

	.end_amdgpu_metadata
